;; amdgpu-corpus repo=ROCm/rocFFT kind=compiled arch=gfx906 opt=O3
	.text
	.amdgcn_target "amdgcn-amd-amdhsa--gfx906"
	.amdhsa_code_object_version 6
	.protected	fft_rtc_fwd_len169_factors_13_13_wgs_156_tpt_13_dp_ip_CI_sbcc_twdbase6_3step ; -- Begin function fft_rtc_fwd_len169_factors_13_13_wgs_156_tpt_13_dp_ip_CI_sbcc_twdbase6_3step
	.globl	fft_rtc_fwd_len169_factors_13_13_wgs_156_tpt_13_dp_ip_CI_sbcc_twdbase6_3step
	.p2align	8
	.type	fft_rtc_fwd_len169_factors_13_13_wgs_156_tpt_13_dp_ip_CI_sbcc_twdbase6_3step,@function
fft_rtc_fwd_len169_factors_13_13_wgs_156_tpt_13_dp_ip_CI_sbcc_twdbase6_3step: ; @fft_rtc_fwd_len169_factors_13_13_wgs_156_tpt_13_dp_ip_CI_sbcc_twdbase6_3step
; %bb.0:
	s_load_dwordx2 s[2:3], s[4:5], 0x58
	s_load_dwordx2 s[20:21], s[4:5], 0x0
	s_load_dwordx8 s[8:15], s[4:5], 0x8
	s_movk_i32 s0, 0xc0
	v_cmp_gt_u32_e32 vcc, s0, v0
	s_and_saveexec_b64 s[4:5], vcc
	s_cbranch_execz .LBB0_3
; %bb.1:
	v_add_co_u32_e32 v1, vcc, 0xffffff64, v0
	v_lshlrev_b32_e32 v5, 4, v0
	v_addc_co_u32_e64 v2, s[0:1], 0, -1, vcc
	s_waitcnt lgkmcnt(0)
	v_mov_b32_e32 v4, s9
	v_add_co_u32_e32 v3, vcc, s8, v5
	v_add_u32_e32 v5, 0, v5
	v_addc_co_u32_e32 v4, vcc, 0, v4, vcc
	v_add_u32_e32 v5, 0x7ec0, v5
	s_mov_b64 s[8:9], 0
.LBB0_2:                                ; =>This Inner Loop Header: Depth=1
	global_load_dwordx4 v[6:9], v[3:4], off
	v_add_co_u32_e32 v1, vcc, 0x9c, v1
	v_addc_co_u32_e32 v2, vcc, 0, v2, vcc
	v_cmp_lt_u64_e64 s[0:1], 35, v[1:2]
	v_add_co_u32_e32 v3, vcc, 0x9c0, v3
	v_addc_co_u32_e32 v4, vcc, 0, v4, vcc
	s_or_b64 s[8:9], s[0:1], s[8:9]
	s_waitcnt vmcnt(0)
	ds_write2_b64 v5, v[6:7], v[8:9] offset1:1
	v_add_u32_e32 v5, 0x9c0, v5
	s_andn2_b64 exec, exec, s[8:9]
	s_cbranch_execnz .LBB0_2
.LBB0_3:
	s_or_b64 exec, exec, s[4:5]
	s_waitcnt lgkmcnt(0)
	s_load_dwordx2 s[8:9], s[12:13], 0x8
	s_mov_b32 s7, 0
	s_waitcnt lgkmcnt(0)
	s_add_u32 s0, s8, -1
	s_addc_u32 s1, s9, -1
	s_add_u32 s4, 0, 0x55540000
	s_addc_u32 s5, 0, 0x55
	s_mul_hi_u32 s17, s4, -12
	s_add_i32 s5, s5, 0x15555500
	s_sub_i32 s17, s17, s4
	s_mul_i32 s22, s5, -12
	s_mul_i32 s16, s4, -12
	s_add_i32 s17, s17, s22
	s_mul_hi_u32 s18, s5, s16
	s_mul_i32 s19, s5, s16
	s_mul_i32 s23, s4, s17
	s_mul_hi_u32 s16, s4, s16
	s_mul_hi_u32 s22, s4, s17
	s_add_u32 s16, s16, s23
	s_addc_u32 s22, 0, s22
	s_add_u32 s16, s16, s19
	s_mul_hi_u32 s23, s5, s17
	s_addc_u32 s16, s22, s18
	s_addc_u32 s18, s23, 0
	s_mul_i32 s17, s5, s17
	s_add_u32 s16, s16, s17
	v_mov_b32_e32 v1, s16
	s_addc_u32 s17, 0, s18
	v_add_co_u32_e32 v1, vcc, s4, v1
	s_cmp_lg_u64 vcc, 0
	s_addc_u32 s4, s5, s17
	v_readfirstlane_b32 s17, v1
	s_mul_i32 s16, s0, s4
	s_mul_hi_u32 s18, s0, s17
	s_mul_hi_u32 s5, s0, s4
	s_add_u32 s16, s18, s16
	s_addc_u32 s5, 0, s5
	s_mul_hi_u32 s19, s1, s17
	s_mul_i32 s17, s1, s17
	s_add_u32 s16, s16, s17
	s_mul_hi_u32 s18, s1, s4
	s_addc_u32 s5, s5, s19
	s_addc_u32 s16, s18, 0
	s_mul_i32 s4, s1, s4
	s_add_u32 s4, s5, s4
	s_addc_u32 s5, 0, s16
	s_add_u32 s16, s4, 1
	s_addc_u32 s17, s5, 0
	s_add_u32 s18, s4, 2
	s_mul_i32 s22, s5, 12
	s_mul_hi_u32 s23, s4, 12
	s_addc_u32 s19, s5, 0
	s_add_i32 s23, s23, s22
	s_mul_i32 s22, s4, 12
	v_mov_b32_e32 v1, s22
	v_sub_co_u32_e32 v1, vcc, s0, v1
	s_cmp_lg_u64 vcc, 0
	s_subb_u32 s0, s1, s23
	v_subrev_co_u32_e32 v2, vcc, 12, v1
	s_cmp_lg_u64 vcc, 0
	s_subb_u32 s1, s0, 0
	v_readfirstlane_b32 s22, v2
	s_cmp_gt_u32 s22, 11
	s_cselect_b32 s22, -1, 0
	s_cmp_eq_u32 s1, 0
	s_cselect_b32 s1, s22, -1
	s_cmp_lg_u32 s1, 0
	s_cselect_b32 s1, s18, s16
	s_cselect_b32 s16, s19, s17
	v_readfirstlane_b32 s17, v1
	s_cmp_gt_u32 s17, 11
	s_cselect_b32 s17, -1, 0
	s_cmp_eq_u32 s0, 0
	s_cselect_b32 s0, s17, -1
	s_cmp_lg_u32 s0, 0
	s_cselect_b32 s1, s1, s4
	s_cselect_b32 s0, s16, s5
	s_add_u32 s4, s1, 1
	s_addc_u32 s5, s0, 0
	v_mov_b32_e32 v1, s4
	v_mov_b32_e32 v2, s5
	v_cmp_lt_u64_e32 vcc, s[6:7], v[1:2]
	s_mov_b64 s[22:23], 0
	s_cbranch_vccnz .LBB0_5
; %bb.4:
	v_cvt_f32_u32_e32 v1, s4
	s_sub_i32 s0, 0, s4
	s_mov_b32 s23, s7
	v_rcp_iflag_f32_e32 v1, v1
	v_mul_f32_e32 v1, 0x4f7ffffe, v1
	v_cvt_u32_f32_e32 v1, v1
	v_readfirstlane_b32 s1, v1
	s_mul_i32 s0, s0, s1
	s_mul_hi_u32 s0, s1, s0
	s_add_i32 s1, s1, s0
	s_mul_hi_u32 s0, s6, s1
	s_mul_i32 s16, s0, s4
	s_sub_i32 s16, s6, s16
	s_add_i32 s1, s0, 1
	s_sub_i32 s17, s16, s4
	s_cmp_ge_u32 s16, s4
	s_cselect_b32 s0, s1, s0
	s_cselect_b32 s16, s17, s16
	s_add_i32 s1, s0, 1
	s_cmp_ge_u32 s16, s4
	s_cselect_b32 s22, s1, s0
.LBB0_5:
	s_mul_i32 s0, s22, s5
	s_mul_hi_u32 s1, s22, s4
	s_load_dwordx4 s[16:19], s[14:15], 0x0
	s_add_i32 s1, s1, s0
	s_mul_i32 s0, s22, s4
	s_sub_u32 s36, s6, s0
	s_subb_u32 s0, 0, s1
	s_mul_i32 s0, s0, 12
	s_mul_hi_u32 s33, s36, 12
	s_add_i32 s33, s33, s0
	s_mul_i32 s36, s36, 12
	s_waitcnt lgkmcnt(0)
	s_mul_i32 s0, s18, s33
	s_mul_hi_u32 s1, s18, s36
	s_add_i32 s0, s1, s0
	s_mul_i32 s1, s19, s36
	s_add_i32 s37, s0, s1
	v_cmp_lt_u64_e64 s[0:1], s[10:11], 3
	s_mul_i32 s38, s18, s36
	s_and_b64 vcc, exec, s[0:1]
	s_cbranch_vccnz .LBB0_15
; %bb.6:
	s_add_u32 s24, s14, 16
	s_addc_u32 s25, s15, 0
	s_add_u32 s12, s12, 16
	v_mov_b32_e32 v1, s10
	s_addc_u32 s13, s13, 0
	s_mov_b64 s[26:27], 2
	s_mov_b32 s28, 0
	v_mov_b32_e32 v2, s11
.LBB0_7:                                ; =>This Inner Loop Header: Depth=1
	s_load_dwordx2 s[30:31], s[12:13], 0x0
	s_waitcnt lgkmcnt(0)
	s_or_b64 s[0:1], s[22:23], s[30:31]
	s_mov_b32 s29, s1
	s_cmp_lg_u64 s[28:29], 0
	s_cbranch_scc0 .LBB0_12
; %bb.8:                                ;   in Loop: Header=BB0_7 Depth=1
	v_cvt_f32_u32_e32 v3, s30
	v_cvt_f32_u32_e32 v4, s31
	s_sub_u32 s0, 0, s30
	s_subb_u32 s1, 0, s31
	v_mac_f32_e32 v3, 0x4f800000, v4
	v_rcp_f32_e32 v3, v3
	v_mul_f32_e32 v3, 0x5f7ffffc, v3
	v_mul_f32_e32 v4, 0x2f800000, v3
	v_trunc_f32_e32 v4, v4
	v_mac_f32_e32 v3, 0xcf800000, v4
	v_cvt_u32_f32_e32 v4, v4
	v_cvt_u32_f32_e32 v3, v3
	v_readfirstlane_b32 s29, v4
	v_readfirstlane_b32 s34, v3
	s_mul_i32 s35, s0, s29
	s_mul_hi_u32 s40, s0, s34
	s_mul_i32 s39, s1, s34
	s_add_i32 s35, s40, s35
	s_mul_i32 s41, s0, s34
	s_add_i32 s35, s35, s39
	s_mul_hi_u32 s39, s34, s35
	s_mul_i32 s40, s34, s35
	s_mul_hi_u32 s34, s34, s41
	s_add_u32 s34, s34, s40
	s_addc_u32 s39, 0, s39
	s_mul_hi_u32 s42, s29, s41
	s_mul_i32 s41, s29, s41
	s_add_u32 s34, s34, s41
	s_mul_hi_u32 s40, s29, s35
	s_addc_u32 s34, s39, s42
	s_addc_u32 s39, s40, 0
	s_mul_i32 s35, s29, s35
	s_add_u32 s34, s34, s35
	s_addc_u32 s35, 0, s39
	v_add_co_u32_e32 v3, vcc, s34, v3
	s_cmp_lg_u64 vcc, 0
	s_addc_u32 s29, s29, s35
	v_readfirstlane_b32 s35, v3
	s_mul_i32 s34, s0, s29
	s_mul_hi_u32 s39, s0, s35
	s_add_i32 s34, s39, s34
	s_mul_i32 s1, s1, s35
	s_add_i32 s34, s34, s1
	s_mul_i32 s0, s0, s35
	s_mul_hi_u32 s39, s29, s0
	s_mul_i32 s40, s29, s0
	s_mul_i32 s42, s35, s34
	s_mul_hi_u32 s0, s35, s0
	s_mul_hi_u32 s41, s35, s34
	s_add_u32 s0, s0, s42
	s_addc_u32 s35, 0, s41
	s_add_u32 s0, s0, s40
	s_mul_hi_u32 s1, s29, s34
	s_addc_u32 s0, s35, s39
	s_addc_u32 s1, s1, 0
	s_mul_i32 s34, s29, s34
	s_add_u32 s0, s0, s34
	s_addc_u32 s1, 0, s1
	v_add_co_u32_e32 v3, vcc, s0, v3
	s_cmp_lg_u64 vcc, 0
	s_addc_u32 s0, s29, s1
	v_readfirstlane_b32 s34, v3
	s_mul_i32 s29, s22, s0
	s_mul_hi_u32 s35, s22, s34
	s_mul_hi_u32 s1, s22, s0
	s_add_u32 s29, s35, s29
	s_addc_u32 s1, 0, s1
	s_mul_hi_u32 s39, s23, s34
	s_mul_i32 s34, s23, s34
	s_add_u32 s29, s29, s34
	s_mul_hi_u32 s35, s23, s0
	s_addc_u32 s1, s1, s39
	s_addc_u32 s29, s35, 0
	s_mul_i32 s0, s23, s0
	s_add_u32 s34, s1, s0
	s_addc_u32 s29, 0, s29
	s_mul_i32 s0, s30, s29
	s_mul_hi_u32 s1, s30, s34
	s_add_i32 s0, s1, s0
	s_mul_i32 s1, s31, s34
	s_add_i32 s35, s0, s1
	s_mul_i32 s1, s30, s34
	v_mov_b32_e32 v3, s1
	s_sub_i32 s0, s23, s35
	v_sub_co_u32_e32 v3, vcc, s22, v3
	s_cmp_lg_u64 vcc, 0
	s_subb_u32 s39, s0, s31
	v_subrev_co_u32_e64 v4, s[0:1], s30, v3
	s_cmp_lg_u64 s[0:1], 0
	s_subb_u32 s0, s39, 0
	s_cmp_ge_u32 s0, s31
	v_readfirstlane_b32 s39, v4
	s_cselect_b32 s1, -1, 0
	s_cmp_ge_u32 s39, s30
	s_cselect_b32 s39, -1, 0
	s_cmp_eq_u32 s0, s31
	s_cselect_b32 s0, s39, s1
	s_add_u32 s1, s34, 1
	s_addc_u32 s39, s29, 0
	s_add_u32 s40, s34, 2
	s_addc_u32 s41, s29, 0
	s_cmp_lg_u32 s0, 0
	s_cselect_b32 s0, s40, s1
	s_cselect_b32 s1, s41, s39
	s_cmp_lg_u64 vcc, 0
	s_subb_u32 s35, s23, s35
	s_cmp_ge_u32 s35, s31
	v_readfirstlane_b32 s40, v3
	s_cselect_b32 s39, -1, 0
	s_cmp_ge_u32 s40, s30
	s_cselect_b32 s40, -1, 0
	s_cmp_eq_u32 s35, s31
	s_cselect_b32 s35, s40, s39
	s_cmp_lg_u32 s35, 0
	s_cselect_b32 s1, s1, s29
	s_cselect_b32 s0, s0, s34
	s_cbranch_execnz .LBB0_10
.LBB0_9:                                ;   in Loop: Header=BB0_7 Depth=1
	v_cvt_f32_u32_e32 v3, s30
	s_sub_i32 s0, 0, s30
	v_rcp_iflag_f32_e32 v3, v3
	v_mul_f32_e32 v3, 0x4f7ffffe, v3
	v_cvt_u32_f32_e32 v3, v3
	v_readfirstlane_b32 s1, v3
	s_mul_i32 s0, s0, s1
	s_mul_hi_u32 s0, s1, s0
	s_add_i32 s1, s1, s0
	s_mul_hi_u32 s0, s22, s1
	s_mul_i32 s29, s0, s30
	s_sub_i32 s29, s22, s29
	s_add_i32 s1, s0, 1
	s_sub_i32 s34, s29, s30
	s_cmp_ge_u32 s29, s30
	s_cselect_b32 s0, s1, s0
	s_cselect_b32 s29, s34, s29
	s_add_i32 s1, s0, 1
	s_cmp_ge_u32 s29, s30
	s_cselect_b32 s0, s1, s0
	s_mov_b32 s1, s28
.LBB0_10:                               ;   in Loop: Header=BB0_7 Depth=1
	s_mul_i32 s5, s30, s5
	s_mul_hi_u32 s29, s30, s4
	s_add_i32 s5, s29, s5
	s_mul_i32 s29, s31, s4
	s_add_i32 s5, s5, s29
	s_mul_i32 s29, s0, s31
	s_mul_hi_u32 s31, s0, s30
	s_load_dwordx2 s[34:35], s[24:25], 0x0
	s_add_i32 s29, s31, s29
	s_mul_i32 s31, s1, s30
	s_mul_i32 s4, s30, s4
	s_add_i32 s29, s29, s31
	s_mul_i32 s30, s0, s30
	s_sub_u32 s22, s22, s30
	s_subb_u32 s23, s23, s29
	s_waitcnt lgkmcnt(0)
	s_mul_i32 s23, s34, s23
	s_mul_hi_u32 s29, s34, s22
	s_add_i32 s23, s29, s23
	s_mul_i32 s29, s35, s22
	s_add_i32 s23, s23, s29
	s_mul_i32 s22, s34, s22
	s_add_u32 s38, s22, s38
	s_addc_u32 s37, s23, s37
	s_add_u32 s26, s26, 1
	s_addc_u32 s27, s27, 0
	;; [unrolled: 2-line block ×3, first 2 shown]
	v_cmp_ge_u64_e32 vcc, s[26:27], v[1:2]
	s_add_u32 s12, s12, 8
	s_addc_u32 s13, s13, 0
	s_cbranch_vccnz .LBB0_13
; %bb.11:                               ;   in Loop: Header=BB0_7 Depth=1
	s_mov_b64 s[22:23], s[0:1]
	s_branch .LBB0_7
.LBB0_12:                               ;   in Loop: Header=BB0_7 Depth=1
                                        ; implicit-def: $sgpr0_sgpr1
	s_branch .LBB0_9
.LBB0_13:
	v_mov_b32_e32 v1, s4
	v_mov_b32_e32 v2, s5
	v_cmp_lt_u64_e32 vcc, s[6:7], v[1:2]
	s_mov_b64 s[22:23], 0
	s_cbranch_vccnz .LBB0_15
; %bb.14:
	v_cvt_f32_u32_e32 v1, s4
	s_sub_i32 s0, 0, s4
	v_rcp_iflag_f32_e32 v1, v1
	v_mul_f32_e32 v1, 0x4f7ffffe, v1
	v_cvt_u32_f32_e32 v1, v1
	v_readfirstlane_b32 s1, v1
	s_mul_i32 s0, s0, s1
	s_mul_hi_u32 s0, s1, s0
	s_add_i32 s1, s1, s0
	s_mul_hi_u32 s0, s6, s1
	s_mul_i32 s5, s0, s4
	s_sub_i32 s5, s6, s5
	s_add_i32 s1, s0, 1
	s_sub_i32 s6, s5, s4
	s_cmp_ge_u32 s5, s4
	s_cselect_b32 s0, s1, s0
	s_cselect_b32 s5, s6, s5
	s_add_i32 s1, s0, 1
	s_cmp_ge_u32 s5, s4
	s_cselect_b32 s22, s1, s0
.LBB0_15:
	s_lshl_b64 s[0:1], s[10:11], 3
	s_add_u32 s0, s14, s0
	s_addc_u32 s1, s15, s1
	s_load_dwordx2 s[0:1], s[0:1], 0x0
	s_mov_b32 s4, 0x15555556
	v_mul_hi_u32 v92, v0, s4
	v_mov_b32_e32 v1, s8
	v_mov_b32_e32 v2, s9
	s_waitcnt lgkmcnt(0)
	s_mul_i32 s1, s1, s22
	s_mul_hi_u32 s4, s0, s22
	s_mul_i32 s0, s0, s22
	s_add_i32 s1, s4, s1
	s_add_u32 s4, s0, s38
	s_addc_u32 s5, s1, s37
	s_add_u32 s0, s36, 12
	s_addc_u32 s1, s33, 0
	v_cmp_le_u64_e32 vcc, s[0:1], v[1:2]
	v_mul_u32_u24_e32 v1, 12, v92
	v_sub_u32_e32 v97, v0, v1
	v_mov_b32_e32 v2, s33
	v_add_co_u32_e64 v1, s[0:1], s36, v97
	v_addc_co_u32_e64 v2, s[0:1], 0, v2, s[0:1]
	v_cmp_gt_u64_e64 s[0:1], s[8:9], v[1:2]
	v_mov_b32_e32 v40, 0
	s_or_b64 s[0:1], vcc, s[0:1]
	v_lshlrev_b32_e32 v98, 4, v92
	v_add_u32_e32 v96, 13, v92
	v_add_u32_e32 v95, 26, v92
	;; [unrolled: 1-line block ×4, first 2 shown]
	s_and_saveexec_b64 s[6:7], s[0:1]
	s_cbranch_execz .LBB0_17
; %bb.16:
	v_mad_u64_u32 v[1:2], s[8:9], s18, v97, 0
	v_mad_u64_u32 v[3:4], s[8:9], s16, v92, 0
	v_add_u32_e32 v34, 0x5b, v92
	v_add_u32_e32 v44, 0x75, v92
	v_mad_u64_u32 v[5:6], s[8:9], s19, v97, v[2:3]
	v_mov_b32_e32 v2, v4
	v_mad_u64_u32 v[6:7], s[8:9], s17, v92, v[2:3]
	s_lshl_b64 s[8:9], s[4:5], 4
	s_add_u32 s10, s2, s8
	s_addc_u32 s8, s3, s9
	v_mov_b32_e32 v2, v5
	v_mov_b32_e32 v4, v6
	;; [unrolled: 1-line block ×3, first 2 shown]
	v_mad_u64_u32 v[5:6], s[8:9], s16, v96, 0
	v_lshlrev_b64 v[1:2], 4, v[1:2]
	v_mad_u64_u32 v[11:12], s[8:9], s16, v95, 0
	v_add_co_u32_e32 v52, vcc, s10, v1
	v_addc_co_u32_e32 v53, vcc, v7, v2, vcc
	v_lshlrev_b64 v[1:2], 4, v[3:4]
	v_mov_b32_e32 v3, v6
	v_mad_u64_u32 v[3:4], s[8:9], s17, v96, v[3:4]
	v_add_co_u32_e32 v9, vcc, v52, v1
	v_mov_b32_e32 v6, v3
	v_addc_co_u32_e32 v10, vcc, v53, v2, vcc
	v_lshlrev_b64 v[1:2], 4, v[5:6]
	v_mad_u64_u32 v[15:16], s[8:9], s16, v94, 0
	v_add_co_u32_e32 v13, vcc, v52, v1
	v_mov_b32_e32 v1, v12
	v_mad_u64_u32 v[17:18], s[8:9], s17, v95, v[1:2]
	v_mov_b32_e32 v1, v16
	v_mad_u64_u32 v[18:19], s[8:9], s17, v94, v[1:2]
	v_mov_b32_e32 v12, v17
	v_addc_co_u32_e32 v14, vcc, v53, v2, vcc
	global_load_dwordx4 v[1:4], v[9:10], off
	global_load_dwordx4 v[5:8], v[13:14], off
	v_lshlrev_b64 v[9:10], 4, v[11:12]
	v_mad_u64_u32 v[21:22], s[8:9], s16, v93, 0
	v_add_co_u32_e32 v17, vcc, v52, v9
	v_mov_b32_e32 v16, v18
	v_addc_co_u32_e32 v18, vcc, v53, v10, vcc
	v_add_u32_e32 v10, 0x41, v92
	v_mad_u64_u32 v[23:24], s[8:9], s16, v10, 0
	v_mov_b32_e32 v9, v22
	v_mad_u64_u32 v[25:26], s[8:9], s17, v93, v[9:10]
	v_lshlrev_b64 v[11:12], 4, v[15:16]
	v_mov_b32_e32 v9, v24
	v_add_co_u32_e32 v19, vcc, v52, v11
	v_mad_u64_u32 v[26:27], s[8:9], s17, v10, v[9:10]
	v_mov_b32_e32 v22, v25
	v_addc_co_u32_e32 v20, vcc, v53, v12, vcc
	global_load_dwordx4 v[9:12], v[17:18], off
	global_load_dwordx4 v[13:16], v[19:20], off
	v_lshlrev_b64 v[17:18], 4, v[21:22]
	v_mov_b32_e32 v24, v26
	v_add_co_u32_e32 v25, vcc, v52, v17
	v_addc_co_u32_e32 v26, vcc, v53, v18, vcc
	v_add_u32_e32 v18, 0x4e, v92
	v_mad_u64_u32 v[27:28], s[8:9], s16, v18, 0
	v_lshlrev_b64 v[19:20], 4, v[23:24]
	v_add_u32_e32 v54, 0x8f, v92
	v_mov_b32_e32 v17, v28
	v_mad_u64_u32 v[31:32], s[8:9], s17, v18, v[17:18]
	v_mad_u64_u32 v[32:33], s[8:9], s16, v34, 0
	v_add_co_u32_e32 v29, vcc, v52, v19
	v_mov_b32_e32 v28, v31
	v_addc_co_u32_e32 v30, vcc, v53, v20, vcc
	global_load_dwordx4 v[17:20], v[25:26], off
	global_load_dwordx4 v[21:24], v[29:30], off
	v_lshlrev_b64 v[25:26], 4, v[27:28]
	v_mov_b32_e32 v27, v33
	v_mad_u64_u32 v[27:28], s[8:9], s17, v34, v[27:28]
	v_add_co_u32_e32 v34, vcc, v52, v25
	v_mov_b32_e32 v33, v27
	v_add_u32_e32 v27, 0x68, v92
	v_mad_u64_u32 v[36:37], s[8:9], s16, v27, 0
	v_addc_co_u32_e32 v35, vcc, v53, v26, vcc
	v_lshlrev_b64 v[25:26], 4, v[32:33]
	v_add_co_u32_e32 v38, vcc, v52, v25
	v_mov_b32_e32 v25, v37
	v_mad_u64_u32 v[41:42], s[8:9], s17, v27, v[25:26]
	v_mad_u64_u32 v[42:43], s[8:9], s16, v44, 0
	v_addc_co_u32_e32 v39, vcc, v53, v26, vcc
	global_load_dwordx4 v[25:28], v[34:35], off
	global_load_dwordx4 v[29:32], v[38:39], off
	v_mov_b32_e32 v37, v41
	v_mov_b32_e32 v35, v43
	v_lshlrev_b64 v[33:34], 4, v[36:37]
	v_mad_u64_u32 v[35:36], s[8:9], s17, v44, v[35:36]
	v_add_co_u32_e32 v37, vcc, v52, v33
	v_mov_b32_e32 v43, v35
	v_add_u32_e32 v35, 0x82, v92
	v_mad_u64_u32 v[45:46], s[8:9], s16, v35, 0
	v_addc_co_u32_e32 v38, vcc, v53, v34, vcc
	v_lshlrev_b64 v[33:34], 4, v[42:43]
	v_add_co_u32_e32 v47, vcc, v52, v33
	v_mov_b32_e32 v33, v46
	v_mad_u64_u32 v[49:50], s[8:9], s17, v35, v[33:34]
	v_mad_u64_u32 v[50:51], s[8:9], s16, v54, 0
	v_mov_b32_e32 v46, v49
	v_addc_co_u32_e32 v48, vcc, v53, v34, vcc
	v_mov_b32_e32 v39, v51
	global_load_dwordx4 v[33:36], v[37:38], off
	global_load_dwordx4 v[41:44], v[47:48], off
	v_lshlrev_b64 v[37:38], 4, v[45:46]
	v_mad_u64_u32 v[45:46], s[8:9], s17, v54, v[39:40]
	v_add_u32_e32 v54, 0x9c, v92
	v_mad_u64_u32 v[46:47], s[8:9], s16, v54, 0
	v_mov_b32_e32 v51, v45
	v_lshlrev_b64 v[48:49], 4, v[50:51]
	v_mov_b32_e32 v39, v47
	v_mad_u64_u32 v[50:51], s[8:9], s17, v54, v[39:40]
	v_add_co_u32_e32 v37, vcc, v52, v37
	v_addc_co_u32_e32 v38, vcc, v53, v38, vcc
	v_mov_b32_e32 v47, v50
	v_add_co_u32_e32 v57, vcc, v52, v48
	v_lshlrev_b64 v[45:46], 4, v[46:47]
	v_addc_co_u32_e32 v58, vcc, v53, v49, vcc
	v_add_co_u32_e32 v59, vcc, v52, v45
	v_addc_co_u32_e32 v60, vcc, v53, v46, vcc
	global_load_dwordx4 v[45:48], v[37:38], off
	global_load_dwordx4 v[49:52], v[57:58], off
	global_load_dwordx4 v[53:56], v[59:60], off
	s_movk_i32 s8, 0xa90
	v_mul_lo_u32 v37, v97, s8
	v_add3_u32 v37, 0, v37, v98
	s_waitcnt vmcnt(12)
	ds_write_b128 v37, v[1:4]
	s_waitcnt vmcnt(11)
	ds_write_b128 v37, v[5:8] offset:208
	s_waitcnt vmcnt(10)
	ds_write_b128 v37, v[9:12] offset:416
	;; [unrolled: 2-line block ×12, first 2 shown]
.LBB0_17:
	s_or_b64 exec, exec, s[6:7]
	s_mov_b32 s6, 0x13b13b14
	v_mul_hi_u32 v5, v0, s6
	s_add_u32 s6, 0, 0x55540000
	s_addc_u32 s7, 0, 0x55
	s_add_i32 s7, s7, 0x15555500
	s_mul_hi_u32 s11, s6, -12
	s_sub_i32 s11, s11, s6
	s_mul_i32 s12, s7, -12
	s_mul_i32 s8, s6, -12
	s_add_i32 s11, s11, s12
	s_mul_hi_u32 s9, s7, s8
	s_mul_i32 s10, s7, s8
	s_mul_i32 s13, s6, s11
	s_mul_hi_u32 s8, s6, s8
	s_mul_hi_u32 s12, s6, s11
	s_add_u32 s8, s8, s13
	s_addc_u32 s12, 0, s12
	s_add_u32 s8, s8, s10
	s_mul_hi_u32 s13, s7, s11
	s_addc_u32 s8, s12, s9
	s_addc_u32 s9, s13, 0
	s_mul_i32 s10, s7, s11
	v_mov_b32_e32 v1, s33
	v_add_co_u32_e32 v80, vcc, s36, v5
	s_add_u32 s8, s8, s10
	v_addc_co_u32_e32 v6, vcc, 0, v1, vcc
	v_mov_b32_e32 v1, s8
	s_addc_u32 s9, 0, s9
	v_add_co_u32_e32 v3, vcc, s6, v1
	s_cmp_lg_u64 vcc, 0
	s_addc_u32 s8, s7, s9
	v_mad_u64_u32 v[1:2], s[6:7], v80, s8, 0
	v_mul_hi_u32 v4, v80, v3
	s_waitcnt lgkmcnt(0)
	s_barrier
	v_add_co_u32_e32 v7, vcc, v4, v1
	v_addc_co_u32_e32 v8, vcc, 0, v2, vcc
	v_mad_u64_u32 v[1:2], s[6:7], v6, v3, 0
	v_mad_u64_u32 v[3:4], s[6:7], v6, s8, 0
	v_add_co_u32_e32 v1, vcc, v7, v1
	v_addc_co_u32_e32 v1, vcc, v8, v2, vcc
	v_addc_co_u32_e32 v2, vcc, 0, v4, vcc
	v_add_co_u32_e32 v1, vcc, v1, v3
	v_addc_co_u32_e32 v3, vcc, 0, v2, vcc
	v_mad_u64_u32 v[1:2], s[6:7], v1, 12, 0
	s_mov_b32 s38, 0x4267c47c
	s_mov_b32 s39, 0xbfddbe06
	v_mad_u64_u32 v[2:3], s[6:7], v3, 12, v[2:3]
	v_sub_co_u32_e32 v1, vcc, v80, v1
	v_subb_co_u32_e32 v2, vcc, v6, v2, vcc
	v_subrev_co_u32_e32 v3, vcc, 12, v1
	v_subbrev_co_u32_e32 v4, vcc, 0, v2, vcc
	v_cmp_lt_u32_e32 vcc, 11, v3
	v_cndmask_b32_e64 v6, 0, -1, vcc
	v_cmp_eq_u32_e32 vcc, 0, v4
	v_cndmask_b32_e32 v4, -1, v6, vcc
	v_add_u32_e32 v6, -12, v3
	v_cmp_ne_u32_e32 vcc, 0, v4
	v_cndmask_b32_e32 v3, v3, v6, vcc
	v_cmp_lt_u32_e32 vcc, 11, v1
	v_cndmask_b32_e64 v4, 0, -1, vcc
	v_cmp_eq_u32_e32 vcc, 0, v2
	v_cndmask_b32_e32 v2, -1, v4, vcc
	v_cmp_ne_u32_e32 vcc, 0, v2
	v_cndmask_b32_e32 v1, v1, v3, vcc
	v_mul_u32_u24_e32 v1, 0xa9, v1
	v_mul_u32_u24_e32 v2, 13, v5
	v_sub_u32_e32 v76, v0, v2
	v_lshlrev_b32_e32 v0, 4, v1
	v_add_u32_e32 v68, 0, v0
	v_lshlrev_b32_e32 v1, 4, v76
	v_add_u32_e32 v67, v68, v1
	v_add3_u32 v99, 0, v1, v0
	ds_read_b128 v[36:39], v67
	ds_read_b128 v[0:3], v99 offset:208
	ds_read_b128 v[41:44], v99 offset:416
	;; [unrolled: 1-line block ×5, first 2 shown]
	s_mov_b32 s14, 0xe00740e9
	s_mov_b32 s15, 0x3fec55a7
	s_waitcnt lgkmcnt(4)
	v_add_f64 v[4:5], v[36:37], v[0:1]
	v_add_f64 v[6:7], v[38:39], v[2:3]
	s_mov_b32 s30, 0x42a4c3d2
	s_mov_b32 s34, 0x66966769
	s_mov_b32 s22, 0x2ef20147
	s_mov_b32 s26, 0x24c2f84
	s_mov_b32 s28, 0x4bc48dbf
	s_mov_b32 s31, 0xbfea55e2
	s_waitcnt lgkmcnt(3)
	v_add_f64 v[4:5], v[4:5], v[41:42]
	v_add_f64 v[6:7], v[6:7], v[43:44]
	s_mov_b32 s35, 0xbfefc445
	s_mov_b32 s23, 0xbfedeba7
	s_mov_b32 s27, 0xbfe5384d
	s_mov_b32 s29, 0xbfcea1e5
	s_mov_b32 s8, 0x1ea71119
	s_mov_b32 s6, 0xebaa3ed8
	s_waitcnt lgkmcnt(2)
	v_add_f64 v[4:5], v[4:5], v[28:29]
	v_add_f64 v[6:7], v[6:7], v[30:31]
	s_mov_b32 s10, 0xb2365da1
	s_mov_b32 s24, 0xd0032e0c
	s_mov_b32 s36, 0x93053d00
	s_mov_b32 s9, 0x3fe22d96
	s_mov_b32 s7, 0x3fbedb7d
	s_mov_b32 s11, 0xbfd6b1d8
	s_waitcnt lgkmcnt(1)
	v_add_f64 v[4:5], v[4:5], v[20:21]
	v_add_f64 v[6:7], v[6:7], v[22:23]
	s_mov_b32 s25, 0xbfe7f3cc
	s_mov_b32 s37, 0xbfef11f4
	s_mov_b32 s43, 0x3fe5384d
	s_mov_b32 s42, s26
	s_mov_b32 s13, 0x3fefc445
	s_mov_b32 s12, s34
	s_waitcnt lgkmcnt(0)
	v_add_f64 v[16:17], v[4:5], v[12:13]
	v_add_f64 v[18:19], v[6:7], v[14:15]
	ds_read_b128 v[4:7], v99 offset:1248
	ds_read_b128 v[8:11], v99 offset:1456
	s_mov_b32 s41, 0x3fddbe06
	s_mov_b32 s40, s38
	;; [unrolled: 1-line block ×5, first 2 shown]
	s_waitcnt lgkmcnt(1)
	v_add_f64 v[16:17], v[16:17], v[4:5]
	v_add_f64 v[18:19], v[18:19], v[6:7]
	s_mov_b32 s48, s28
	s_mov_b32 s45, 0x3fea55e2
	;; [unrolled: 1-line block ×3, first 2 shown]
	s_movk_i32 s33, 0xd0
	v_mul_lo_u32 v91, v76, v80
	s_waitcnt lgkmcnt(0)
	v_add_f64 v[32:33], v[16:17], v[8:9]
	v_add_f64 v[34:35], v[18:19], v[10:11]
	ds_read_b128 v[16:19], v99 offset:1664
	ds_read_b128 v[24:27], v99 offset:1872
	;; [unrolled: 1-line block ×3, first 2 shown]
	s_waitcnt lgkmcnt(2)
	v_add_f64 v[32:33], v[32:33], v[16:17]
	v_add_f64 v[34:35], v[34:35], v[18:19]
	s_waitcnt lgkmcnt(0)
	v_add_f64 v[57:58], v[2:3], -v[47:48]
	v_add_f64 v[59:60], v[0:1], -v[45:46]
	v_add_f64 v[61:62], v[0:1], v[45:46]
	v_add_f64 v[63:64], v[2:3], v[47:48]
	v_add_f64 v[53:54], v[32:33], v[24:25]
	v_add_f64 v[55:56], v[34:35], v[26:27]
	ds_read_b128 v[32:35], v99 offset:2080
	ds_read_b128 v[49:52], v99 offset:2288
	v_mul_f64 v[65:66], v[57:58], s[38:39]
	v_mul_f64 v[69:70], v[59:60], s[38:39]
	;; [unrolled: 1-line block ×5, first 2 shown]
	s_waitcnt lgkmcnt(1)
	v_add_f64 v[53:54], v[53:54], v[32:33]
	v_add_f64 v[55:56], v[55:56], v[34:35]
	v_mul_f64 v[89:90], v[59:60], s[22:23]
	v_mul_f64 v[100:101], v[57:58], s[26:27]
	;; [unrolled: 1-line block ×3, first 2 shown]
	s_waitcnt lgkmcnt(0)
	v_add_f64 v[112:113], v[43:44], -v[51:52]
	v_add_f64 v[114:115], v[41:42], -v[49:50]
	v_fma_f64 v[83:84], v[61:62], s[6:7], -v[71:72]
	v_add_f64 v[0:1], v[53:54], v[49:50]
	v_add_f64 v[2:3], v[55:56], v[51:52]
	v_fma_f64 v[53:54], v[61:62], s[14:15], -v[65:66]
	v_fma_f64 v[55:56], v[63:64], s[14:15], v[69:70]
	v_fma_f64 v[85:86], v[63:64], s[6:7], v[73:74]
	;; [unrolled: 1-line block ×3, first 2 shown]
	v_fma_f64 v[73:74], v[63:64], s[6:7], -v[73:74]
	v_fma_f64 v[104:105], v[61:62], s[10:11], -v[87:88]
	v_add_f64 v[0:1], v[0:1], v[45:46]
	v_add_f64 v[2:3], v[2:3], v[47:48]
	;; [unrolled: 1-line block ×4, first 2 shown]
	v_fma_f64 v[53:54], v[61:62], s[14:15], v[65:66]
	v_fma_f64 v[55:56], v[63:64], s[14:15], -v[69:70]
	v_mul_f64 v[65:66], v[57:58], s[30:31]
	v_mul_f64 v[69:70], v[59:60], s[30:31]
	;; [unrolled: 1-line block ×4, first 2 shown]
	v_fma_f64 v[106:107], v[63:64], s[10:11], v[89:90]
	v_fma_f64 v[87:88], v[61:62], s[10:11], v[87:88]
	v_fma_f64 v[89:90], v[63:64], s[10:11], -v[89:90]
	v_fma_f64 v[108:109], v[61:62], s[24:25], -v[100:101]
	;; [unrolled: 1-line block ×3, first 2 shown]
	v_fma_f64 v[81:82], v[63:64], s[8:9], v[69:70]
	v_fma_f64 v[65:66], v[61:62], s[8:9], v[65:66]
	v_fma_f64 v[69:70], v[63:64], s[8:9], -v[69:70]
	v_fma_f64 v[110:111], v[63:64], s[24:25], v[102:103]
	v_fma_f64 v[100:101], v[61:62], s[24:25], v[100:101]
	v_fma_f64 v[102:103], v[63:64], s[24:25], -v[102:103]
	v_add_f64 v[41:42], v[41:42], v[49:50]
	v_add_f64 v[43:44], v[43:44], v[51:52]
	v_mul_f64 v[49:50], v[112:113], s[30:31]
	v_mul_f64 v[51:52], v[114:115], s[30:31]
	v_fma_f64 v[116:117], v[61:62], s[36:37], -v[57:58]
	v_fma_f64 v[118:119], v[63:64], s[36:37], v[59:60]
	v_fma_f64 v[57:58], v[61:62], s[36:37], v[57:58]
	v_fma_f64 v[59:60], v[63:64], s[36:37], -v[59:60]
	v_add_f64 v[53:54], v[36:37], v[53:54]
	v_add_f64 v[55:56], v[38:39], v[55:56]
	v_add_f64 v[77:78], v[36:37], v[77:78]
	v_add_f64 v[81:82], v[38:39], v[81:82]
	v_add_f64 v[65:66], v[36:37], v[65:66]
	v_add_f64 v[69:70], v[38:39], v[69:70]
	v_add_f64 v[83:84], v[36:37], v[83:84]
	v_add_f64 v[85:86], v[38:39], v[85:86]
	v_add_f64 v[71:72], v[36:37], v[71:72]
	v_add_f64 v[73:74], v[38:39], v[73:74]
	v_add_f64 v[104:105], v[36:37], v[104:105]
	v_add_f64 v[106:107], v[38:39], v[106:107]
	v_add_f64 v[87:88], v[36:37], v[87:88]
	v_add_f64 v[89:90], v[38:39], v[89:90]
	v_add_f64 v[108:109], v[36:37], v[108:109]
	v_add_f64 v[110:111], v[38:39], v[110:111]
	v_add_f64 v[61:62], v[36:37], v[100:101]
	v_add_f64 v[63:64], v[38:39], v[102:103]
	v_fma_f64 v[100:101], v[41:42], s[8:9], -v[49:50]
	v_fma_f64 v[102:103], v[43:44], s[8:9], v[51:52]
	v_add_f64 v[116:117], v[36:37], v[116:117]
	v_add_f64 v[118:119], v[38:39], v[118:119]
	;; [unrolled: 1-line block ×4, first 2 shown]
	v_mul_f64 v[57:58], v[112:113], s[22:23]
	v_mul_f64 v[59:60], v[114:115], s[22:23]
	v_add_f64 v[45:46], v[100:101], v[45:46]
	v_add_f64 v[47:48], v[102:103], v[47:48]
	v_mul_f64 v[100:101], v[112:113], s[28:29]
	v_mul_f64 v[102:103], v[114:115], s[28:29]
	v_fma_f64 v[49:50], v[41:42], s[8:9], v[49:50]
	v_fma_f64 v[51:52], v[43:44], s[8:9], -v[51:52]
	v_fma_f64 v[120:121], v[41:42], s[10:11], -v[57:58]
	v_fma_f64 v[122:123], v[43:44], s[10:11], v[59:60]
	v_fma_f64 v[57:58], v[41:42], s[10:11], v[57:58]
	v_fma_f64 v[59:60], v[43:44], s[10:11], -v[59:60]
	v_fma_f64 v[124:125], v[41:42], s[36:37], -v[100:101]
	v_fma_f64 v[126:127], v[43:44], s[36:37], v[102:103]
	v_add_f64 v[49:50], v[49:50], v[53:54]
	v_add_f64 v[51:52], v[51:52], v[55:56]
	;; [unrolled: 1-line block ×4, first 2 shown]
	v_mul_f64 v[77:78], v[112:113], s[42:43]
	v_mul_f64 v[81:82], v[114:115], s[42:43]
	v_add_f64 v[57:58], v[57:58], v[65:66]
	v_add_f64 v[59:60], v[59:60], v[69:70]
	;; [unrolled: 1-line block ×4, first 2 shown]
	v_mul_f64 v[83:84], v[112:113], s[12:13]
	v_mul_f64 v[85:86], v[114:115], s[12:13]
	v_fma_f64 v[100:101], v[41:42], s[36:37], v[100:101]
	v_fma_f64 v[102:103], v[43:44], s[36:37], -v[102:103]
	v_fma_f64 v[120:121], v[41:42], s[24:25], -v[77:78]
	v_fma_f64 v[122:123], v[43:44], s[24:25], v[81:82]
	v_fma_f64 v[77:78], v[41:42], s[24:25], v[77:78]
	v_fma_f64 v[81:82], v[43:44], s[24:25], -v[81:82]
	v_fma_f64 v[124:125], v[41:42], s[6:7], -v[83:84]
	v_fma_f64 v[126:127], v[43:44], s[6:7], v[85:86]
	v_add_f64 v[71:72], v[100:101], v[71:72]
	v_add_f64 v[73:74], v[102:103], v[73:74]
	;; [unrolled: 1-line block ×4, first 2 shown]
	v_add_f64 v[104:105], v[30:31], -v[34:35]
	v_add_f64 v[106:107], v[28:29], -v[32:33]
	v_add_f64 v[77:78], v[77:78], v[87:88]
	v_add_f64 v[81:82], v[81:82], v[89:90]
	;; [unrolled: 1-line block ×4, first 2 shown]
	v_mul_f64 v[108:109], v[112:113], s[40:41]
	v_mul_f64 v[110:111], v[114:115], s[40:41]
	v_add_f64 v[28:29], v[28:29], v[32:33]
	v_add_f64 v[30:31], v[30:31], v[34:35]
	v_mul_f64 v[32:33], v[104:105], s[34:35]
	v_mul_f64 v[34:35], v[106:107], s[34:35]
	v_fma_f64 v[83:84], v[41:42], s[6:7], v[83:84]
	v_fma_f64 v[85:86], v[43:44], s[6:7], -v[85:86]
	v_fma_f64 v[112:113], v[41:42], s[14:15], -v[108:109]
	v_fma_f64 v[114:115], v[43:44], s[14:15], v[110:111]
	v_fma_f64 v[41:42], v[41:42], s[14:15], v[108:109]
	v_fma_f64 v[43:44], v[43:44], s[14:15], -v[110:111]
	v_fma_f64 v[108:109], v[28:29], s[6:7], -v[32:33]
	v_fma_f64 v[110:111], v[30:31], s[6:7], v[34:35]
	v_fma_f64 v[32:33], v[28:29], s[6:7], v[32:33]
	v_fma_f64 v[34:35], v[30:31], s[6:7], -v[34:35]
	v_add_f64 v[61:62], v[83:84], v[61:62]
	v_add_f64 v[63:64], v[85:86], v[63:64]
	;; [unrolled: 1-line block ×6, first 2 shown]
	v_mul_f64 v[45:46], v[104:105], s[28:29]
	v_mul_f64 v[47:48], v[106:107], s[28:29]
	;; [unrolled: 1-line block ×4, first 2 shown]
	v_add_f64 v[83:84], v[112:113], v[116:117]
	v_add_f64 v[85:86], v[114:115], v[118:119]
	;; [unrolled: 1-line block ×4, first 2 shown]
	v_fma_f64 v[112:113], v[28:29], s[36:37], -v[45:46]
	v_fma_f64 v[114:115], v[30:31], s[36:37], v[47:48]
	v_fma_f64 v[45:46], v[28:29], s[36:37], v[45:46]
	v_fma_f64 v[47:48], v[30:31], s[36:37], -v[47:48]
	v_fma_f64 v[49:50], v[28:29], s[10:11], -v[108:109]
	v_fma_f64 v[51:52], v[30:31], s[10:11], v[110:111]
	s_barrier
	v_add_f64 v[53:54], v[112:113], v[53:54]
	v_add_f64 v[55:56], v[114:115], v[55:56]
	;; [unrolled: 1-line block ×4, first 2 shown]
	v_mul_f64 v[57:58], v[104:105], s[40:41]
	v_mul_f64 v[59:60], v[106:107], s[40:41]
	v_add_f64 v[49:50], v[49:50], v[65:66]
	v_add_f64 v[51:52], v[51:52], v[69:70]
	v_fma_f64 v[65:66], v[28:29], s[10:11], v[108:109]
	v_fma_f64 v[69:70], v[30:31], s[10:11], -v[110:111]
	v_mul_f64 v[108:109], v[104:105], s[30:31]
	v_mul_f64 v[110:111], v[106:107], s[30:31]
	v_fma_f64 v[112:113], v[28:29], s[14:15], -v[57:58]
	v_fma_f64 v[114:115], v[30:31], s[14:15], v[59:60]
	v_fma_f64 v[57:58], v[28:29], s[14:15], v[57:58]
	v_fma_f64 v[59:60], v[30:31], s[14:15], -v[59:60]
	v_add_f64 v[65:66], v[65:66], v[71:72]
	v_add_f64 v[69:70], v[69:70], v[73:74]
	v_fma_f64 v[71:72], v[28:29], s[8:9], -v[108:109]
	v_fma_f64 v[73:74], v[30:31], s[8:9], v[110:111]
	v_add_f64 v[100:101], v[112:113], v[100:101]
	v_add_f64 v[102:103], v[114:115], v[102:103]
	;; [unrolled: 1-line block ×4, first 2 shown]
	v_mul_f64 v[77:78], v[104:105], s[26:27]
	v_mul_f64 v[81:82], v[106:107], s[26:27]
	v_add_f64 v[71:72], v[71:72], v[87:88]
	v_add_f64 v[73:74], v[73:74], v[89:90]
	v_add_f64 v[87:88], v[22:23], -v[26:27]
	v_add_f64 v[89:90], v[20:21], -v[24:25]
	v_fma_f64 v[104:105], v[28:29], s[8:9], v[108:109]
	v_fma_f64 v[106:107], v[30:31], s[8:9], -v[110:111]
	v_fma_f64 v[108:109], v[28:29], s[24:25], -v[77:78]
	v_fma_f64 v[110:111], v[30:31], s[24:25], v[81:82]
	v_add_f64 v[20:21], v[20:21], v[24:25]
	v_add_f64 v[22:23], v[22:23], v[26:27]
	v_mul_f64 v[24:25], v[87:88], s[22:23]
	v_mul_f64 v[26:27], v[89:90], s[22:23]
	v_fma_f64 v[28:29], v[28:29], s[24:25], v[77:78]
	v_fma_f64 v[30:31], v[30:31], s[24:25], -v[81:82]
	v_add_f64 v[77:78], v[108:109], v[83:84]
	v_add_f64 v[81:82], v[110:111], v[85:86]
	;; [unrolled: 1-line block ×4, first 2 shown]
	v_fma_f64 v[83:84], v[20:21], s[10:11], -v[24:25]
	v_fma_f64 v[85:86], v[22:23], s[10:11], v[26:27]
	v_add_f64 v[28:29], v[28:29], v[36:37]
	v_add_f64 v[30:31], v[30:31], v[38:39]
	v_mul_f64 v[36:37], v[87:88], s[42:43]
	v_mul_f64 v[38:39], v[89:90], s[42:43]
	v_fma_f64 v[24:25], v[20:21], s[10:11], v[24:25]
	v_fma_f64 v[26:27], v[22:23], s[10:11], -v[26:27]
	v_add_f64 v[41:42], v[83:84], v[41:42]
	v_add_f64 v[43:44], v[85:86], v[43:44]
	v_mul_f64 v[83:84], v[87:88], s[40:41]
	v_mul_f64 v[85:86], v[89:90], s[40:41]
	v_fma_f64 v[104:105], v[20:21], s[24:25], -v[36:37]
	v_fma_f64 v[106:107], v[22:23], s[24:25], v[38:39]
	v_add_f64 v[24:25], v[24:25], v[32:33]
	v_add_f64 v[26:27], v[26:27], v[34:35]
	v_fma_f64 v[32:33], v[20:21], s[24:25], v[36:37]
	v_fma_f64 v[34:35], v[22:23], s[24:25], -v[38:39]
	v_fma_f64 v[36:37], v[20:21], s[14:15], -v[83:84]
	v_fma_f64 v[38:39], v[22:23], s[14:15], v[85:86]
	v_add_f64 v[53:54], v[104:105], v[53:54]
	v_add_f64 v[55:56], v[106:107], v[55:56]
	v_mul_f64 v[104:105], v[87:88], s[34:35]
	v_mul_f64 v[106:107], v[89:90], s[34:35]
	v_add_f64 v[32:33], v[32:33], v[45:46]
	v_add_f64 v[45:46], v[34:35], v[47:48]
	;; [unrolled: 1-line block ×4, first 2 shown]
	v_fma_f64 v[34:35], v[20:21], s[14:15], v[83:84]
	v_fma_f64 v[36:37], v[22:23], s[14:15], -v[85:86]
	v_fma_f64 v[38:39], v[20:21], s[6:7], -v[104:105]
	v_fma_f64 v[49:50], v[22:23], s[6:7], v[106:107]
	v_mul_f64 v[51:52], v[87:88], s[48:49]
	v_mul_f64 v[83:84], v[89:90], s[48:49]
	v_fma_f64 v[85:86], v[20:21], s[6:7], v[104:105]
	v_fma_f64 v[104:105], v[22:23], s[6:7], -v[106:107]
	v_add_f64 v[65:66], v[34:35], v[65:66]
	v_add_f64 v[69:70], v[36:37], v[69:70]
	;; [unrolled: 1-line block ×4, first 2 shown]
	v_fma_f64 v[34:35], v[20:21], s[36:37], -v[51:52]
	v_fma_f64 v[36:37], v[22:23], s[36:37], v[83:84]
	v_mul_f64 v[38:39], v[87:88], s[44:45]
	v_mul_f64 v[49:50], v[89:90], s[44:45]
	v_add_f64 v[87:88], v[14:15], -v[18:19]
	v_add_f64 v[89:90], v[12:13], -v[16:17]
	v_add_f64 v[85:86], v[85:86], v[57:58]
	v_add_f64 v[106:107], v[14:15], v[18:19]
	;; [unrolled: 1-line block ×4, first 2 shown]
	v_fma_f64 v[34:35], v[20:21], s[36:37], v[51:52]
	v_fma_f64 v[36:37], v[22:23], s[36:37], -v[83:84]
	v_fma_f64 v[57:58], v[22:23], s[8:9], v[49:50]
	v_add_f64 v[83:84], v[12:13], v[16:17]
	v_mul_f64 v[12:13], v[87:88], s[26:27]
	v_mul_f64 v[14:15], v[89:90], s[26:27]
	v_fma_f64 v[16:17], v[20:21], s[8:9], v[38:39]
	v_fma_f64 v[18:19], v[22:23], s[8:9], -v[49:50]
	v_add_f64 v[104:105], v[104:105], v[59:60]
	v_fma_f64 v[51:52], v[20:21], s[8:9], -v[38:39]
	v_add_f64 v[20:21], v[34:35], v[61:62]
	v_add_f64 v[22:23], v[36:37], v[63:64]
	;; [unrolled: 1-line block ×3, first 2 shown]
	v_fma_f64 v[34:35], v[83:84], s[24:25], -v[12:13]
	v_fma_f64 v[36:37], v[106:107], s[24:25], v[14:15]
	v_add_f64 v[57:58], v[16:17], v[28:29]
	v_add_f64 v[59:60], v[18:19], v[30:31]
	v_mul_f64 v[16:17], v[87:88], s[12:13]
	v_mul_f64 v[18:19], v[89:90], s[12:13]
	v_fma_f64 v[12:13], v[83:84], s[24:25], v[12:13]
	v_fma_f64 v[14:15], v[106:107], s[24:25], -v[14:15]
	v_mul_f64 v[28:29], v[87:88], s[30:31]
	v_mul_f64 v[30:31], v[89:90], s[30:31]
	v_add_f64 v[77:78], v[51:52], v[77:78]
	v_add_f64 v[61:62], v[34:35], v[41:42]
	;; [unrolled: 1-line block ×3, first 2 shown]
	v_fma_f64 v[34:35], v[83:84], s[6:7], -v[16:17]
	v_fma_f64 v[36:37], v[106:107], s[6:7], v[18:19]
	v_add_f64 v[49:50], v[12:13], v[24:25]
	v_add_f64 v[51:52], v[14:15], v[26:27]
	v_fma_f64 v[12:13], v[83:84], s[6:7], v[16:17]
	v_fma_f64 v[14:15], v[106:107], s[6:7], -v[18:19]
	v_fma_f64 v[16:17], v[83:84], s[8:9], -v[28:29]
	v_fma_f64 v[18:19], v[106:107], s[8:9], v[30:31]
	v_mul_f64 v[24:25], v[87:88], s[48:49]
	v_mul_f64 v[26:27], v[89:90], s[48:49]
	v_add_f64 v[53:54], v[34:35], v[53:54]
	v_add_f64 v[55:56], v[36:37], v[55:56]
	;; [unrolled: 1-line block ×6, first 2 shown]
	v_fma_f64 v[12:13], v[83:84], s[8:9], v[28:29]
	v_fma_f64 v[14:15], v[106:107], s[8:9], -v[30:31]
	v_fma_f64 v[16:17], v[83:84], s[36:37], -v[24:25]
	v_fma_f64 v[18:19], v[106:107], s[36:37], v[26:27]
	v_mul_f64 v[30:31], v[87:88], s[40:41]
	v_mul_f64 v[32:33], v[89:90], s[40:41]
	v_fma_f64 v[24:25], v[83:84], s[36:37], v[24:25]
	v_fma_f64 v[47:48], v[106:107], s[36:37], -v[26:27]
	v_add_f64 v[43:44], v[12:13], v[65:66]
	v_add_f64 v[45:46], v[14:15], v[69:70]
	;; [unrolled: 1-line block ×4, first 2 shown]
	v_fma_f64 v[12:13], v[83:84], s[14:15], -v[30:31]
	v_fma_f64 v[14:15], v[106:107], s[14:15], v[32:33]
	v_add_f64 v[16:17], v[24:25], v[85:86]
	v_add_f64 v[18:19], v[47:48], v[104:105]
	v_fma_f64 v[24:25], v[83:84], s[14:15], v[30:31]
	v_fma_f64 v[47:48], v[106:107], s[14:15], -v[32:33]
	v_mul_f64 v[65:66], v[87:88], s[22:23]
	v_mul_f64 v[69:70], v[89:90], s[22:23]
	v_add_f64 v[32:33], v[6:7], -v[10:11]
	v_add_f64 v[30:31], v[4:5], -v[8:9]
	v_add_f64 v[12:13], v[12:13], v[71:72]
	v_add_f64 v[14:15], v[14:15], v[73:74]
	;; [unrolled: 1-line block ×4, first 2 shown]
	v_fma_f64 v[47:48], v[83:84], s[10:11], -v[65:66]
	v_fma_f64 v[71:72], v[106:107], s[10:11], v[69:70]
	v_add_f64 v[24:25], v[4:5], v[8:9]
	v_add_f64 v[8:9], v[6:7], v[10:11]
	v_mul_f64 v[4:5], v[32:33], s[28:29]
	v_mul_f64 v[6:7], v[30:31], s[28:29]
	v_fma_f64 v[65:66], v[83:84], s[10:11], v[65:66]
	v_fma_f64 v[69:70], v[106:107], s[10:11], -v[69:70]
	v_add_f64 v[10:11], v[47:48], v[77:78]
	v_add_f64 v[47:48], v[71:72], v[81:82]
	v_mul_f64 v[71:72], v[32:33], s[40:41]
	v_mul_f64 v[73:74], v[30:31], s[40:41]
	v_fma_f64 v[77:78], v[24:25], s[36:37], -v[4:5]
	v_fma_f64 v[81:82], v[8:9], s[36:37], v[6:7]
	v_add_f64 v[65:66], v[65:66], v[57:58]
	v_add_f64 v[57:58], v[69:70], v[59:60]
	v_fma_f64 v[59:60], v[24:25], s[36:37], v[4:5]
	v_fma_f64 v[69:70], v[8:9], s[36:37], -v[6:7]
	v_fma_f64 v[83:84], v[24:25], s[14:15], -v[71:72]
	v_fma_f64 v[85:86], v[8:9], s[14:15], v[73:74]
	v_add_f64 v[4:5], v[77:78], v[61:62]
	v_add_f64 v[6:7], v[81:82], v[63:64]
	v_mul_f64 v[61:62], v[32:33], s[26:27]
	v_mul_f64 v[63:64], v[30:31], s[26:27]
	v_add_f64 v[49:50], v[59:60], v[49:50]
	v_add_f64 v[51:52], v[69:70], v[51:52]
	;; [unrolled: 1-line block ×3, first 2 shown]
	v_fma_f64 v[59:60], v[24:25], s[14:15], v[71:72]
	v_fma_f64 v[69:70], v[8:9], s[14:15], -v[73:74]
	v_mul_f64 v[77:78], v[32:33], s[44:45]
	v_fma_f64 v[71:72], v[24:25], s[24:25], -v[61:62]
	v_fma_f64 v[73:74], v[8:9], s[24:25], v[63:64]
	v_fma_f64 v[83:84], v[24:25], s[24:25], v[61:62]
	v_fma_f64 v[63:64], v[8:9], s[24:25], -v[63:64]
	v_mul_f64 v[81:82], v[30:31], s[44:45]
	v_add_f64 v[34:35], v[59:60], v[34:35]
	v_add_f64 v[36:37], v[69:70], v[36:37]
	;; [unrolled: 1-line block ×5, first 2 shown]
	v_fma_f64 v[38:39], v[24:25], s[8:9], -v[77:78]
	v_add_f64 v[41:42], v[83:84], v[43:44]
	v_add_f64 v[43:44], v[63:64], v[45:46]
	v_fma_f64 v[45:46], v[24:25], s[8:9], v[77:78]
	v_mul_f64 v[71:72], v[32:33], s[22:23]
	v_mul_f64 v[73:74], v[30:31], s[22:23]
	v_fma_f64 v[69:70], v[8:9], s[8:9], v[81:82]
	v_fma_f64 v[63:64], v[8:9], s[8:9], -v[81:82]
	v_mul_f64 v[32:33], v[32:33], s[12:13]
	v_mul_f64 v[30:31], v[30:31], s[12:13]
	v_add_f64 v[26:27], v[38:39], v[26:27]
	v_add_f64 v[16:17], v[45:46], v[16:17]
	v_fma_f64 v[38:39], v[24:25], s[10:11], -v[71:72]
	v_fma_f64 v[45:46], v[8:9], s[10:11], v[73:74]
	v_add_f64 v[28:29], v[69:70], v[28:29]
	v_add_f64 v[18:19], v[63:64], v[18:19]
	v_fma_f64 v[63:64], v[24:25], s[10:11], v[71:72]
	v_fma_f64 v[69:70], v[8:9], s[10:11], -v[73:74]
	v_fma_f64 v[71:72], v[24:25], s[6:7], -v[32:33]
	v_fma_f64 v[73:74], v[8:9], s[6:7], v[30:31]
	v_fma_f64 v[24:25], v[24:25], s[6:7], v[32:33]
	v_fma_f64 v[32:33], v[8:9], s[6:7], -v[30:31]
	v_add_f64 v[12:13], v[38:39], v[12:13]
	v_add_f64 v[14:15], v[45:46], v[14:15]
	v_mul_i32_i24_e32 v39, 12, v76
	v_add_f64 v[20:21], v[63:64], v[20:21]
	v_add_f64 v[8:9], v[71:72], v[10:11]
	;; [unrolled: 1-line block ×5, first 2 shown]
	v_mad_i32_i24 v24, v76, s33, v68
	v_add_f64 v[22:23], v[69:70], v[22:23]
	ds_write_b128 v24, v[0:3]
	ds_write_b128 v24, v[4:7] offset:16
	ds_write_b128 v24, v[53:56] offset:32
	;; [unrolled: 1-line block ×12, first 2 shown]
	v_lshlrev_b64 v[0:1], 4, v[39:40]
	v_mov_b32_e32 v2, s21
	v_add_co_u32_e32 v52, vcc, s20, v0
	v_addc_co_u32_e32 v53, vcc, v2, v1, vcc
	s_waitcnt lgkmcnt(0)
	s_barrier
	global_load_dwordx4 v[0:3], v[52:53], off
	global_load_dwordx4 v[4:7], v[52:53], off offset:16
	global_load_dwordx4 v[8:11], v[52:53], off offset:32
	global_load_dwordx4 v[12:15], v[52:53], off offset:48
	global_load_dwordx4 v[16:19], v[52:53], off offset:64
	global_load_dwordx4 v[20:23], v[52:53], off offset:80
	global_load_dwordx4 v[24:27], v[52:53], off offset:96
	global_load_dwordx4 v[28:31], v[52:53], off offset:112
	global_load_dwordx4 v[32:35], v[52:53], off offset:128
	global_load_dwordx4 v[36:39], v[52:53], off offset:144
	global_load_dwordx4 v[40:43], v[52:53], off offset:176
	ds_read_b128 v[44:47], v99 offset:208
	ds_read_b128 v[48:51], v99 offset:416
	global_load_dwordx4 v[52:55], v[52:53], off offset:160
	ds_read_b128 v[56:59], v99 offset:624
	s_waitcnt vmcnt(11) lgkmcnt(2)
	v_mul_f64 v[60:61], v[46:47], v[2:3]
	v_mul_f64 v[2:3], v[44:45], v[2:3]
	s_waitcnt vmcnt(10) lgkmcnt(1)
	v_mul_f64 v[62:63], v[50:51], v[6:7]
	v_mul_f64 v[6:7], v[48:49], v[6:7]
	v_fma_f64 v[60:61], v[44:45], v[0:1], -v[60:61]
	v_fma_f64 v[64:65], v[46:47], v[0:1], v[2:3]
	ds_read_b128 v[44:47], v67
	v_fma_f64 v[48:49], v[48:49], v[4:5], -v[62:63]
	v_fma_f64 v[50:51], v[50:51], v[4:5], v[6:7]
	s_waitcnt vmcnt(9) lgkmcnt(1)
	v_mul_f64 v[62:63], v[58:59], v[10:11]
	v_mul_f64 v[10:11], v[56:57], v[10:11]
	ds_read_b128 v[0:3], v99 offset:832
	ds_read_b128 v[4:7], v99 offset:1040
	s_waitcnt lgkmcnt(2)
	v_add_f64 v[66:67], v[44:45], v[60:61]
	v_add_f64 v[68:69], v[46:47], v[64:65]
	s_waitcnt vmcnt(8) lgkmcnt(1)
	v_mul_f64 v[70:71], v[2:3], v[14:15]
	v_mul_f64 v[14:15], v[0:1], v[14:15]
	v_fma_f64 v[56:57], v[56:57], v[8:9], -v[62:63]
	v_fma_f64 v[58:59], v[58:59], v[8:9], v[10:11]
	v_add_f64 v[62:63], v[66:67], v[48:49]
	v_add_f64 v[8:9], v[68:69], v[50:51]
	v_fma_f64 v[66:67], v[0:1], v[12:13], -v[70:71]
	v_fma_f64 v[68:69], v[2:3], v[12:13], v[14:15]
	s_waitcnt vmcnt(7) lgkmcnt(0)
	v_mul_f64 v[12:13], v[6:7], v[18:19]
	v_mul_f64 v[18:19], v[4:5], v[18:19]
	ds_read_b128 v[0:3], v99 offset:1248
	v_add_f64 v[14:15], v[62:63], v[56:57]
	v_add_f64 v[62:63], v[8:9], v[58:59]
	ds_read_b128 v[8:11], v99 offset:1456
	s_waitcnt vmcnt(6) lgkmcnt(1)
	v_mul_f64 v[70:71], v[2:3], v[22:23]
	v_mul_f64 v[22:23], v[0:1], v[22:23]
	v_fma_f64 v[72:73], v[4:5], v[16:17], -v[12:13]
	v_fma_f64 v[74:75], v[6:7], v[16:17], v[18:19]
	v_add_f64 v[12:13], v[14:15], v[66:67]
	v_add_f64 v[14:15], v[62:63], v[68:69]
	s_waitcnt vmcnt(5) lgkmcnt(0)
	v_mul_f64 v[16:17], v[10:11], v[26:27]
	v_mul_f64 v[18:19], v[8:9], v[26:27]
	v_fma_f64 v[4:5], v[0:1], v[20:21], -v[70:71]
	v_fma_f64 v[6:7], v[2:3], v[20:21], v[22:23]
	ds_read_b128 v[0:3], v99 offset:1664
	v_add_f64 v[20:21], v[12:13], v[72:73]
	v_add_f64 v[22:23], v[14:15], v[74:75]
	ds_read_b128 v[12:15], v99 offset:1872
	v_fma_f64 v[8:9], v[8:9], v[24:25], -v[16:17]
	s_waitcnt vmcnt(4) lgkmcnt(1)
	v_mul_f64 v[62:63], v[2:3], v[30:31]
	v_mul_f64 v[30:31], v[0:1], v[30:31]
	v_fma_f64 v[10:11], v[10:11], v[24:25], v[18:19]
	v_add_f64 v[70:71], v[20:21], v[4:5]
	v_add_f64 v[77:78], v[22:23], v[6:7]
	ds_read_b128 v[16:19], v99 offset:2080
	ds_read_b128 v[20:23], v99 offset:2288
	;; [unrolled: 1-line block ×3, first 2 shown]
	v_fma_f64 v[62:63], v[0:1], v[28:29], -v[62:63]
	v_fma_f64 v[28:29], v[2:3], v[28:29], v[30:31]
	s_waitcnt vmcnt(3) lgkmcnt(3)
	v_mul_f64 v[0:1], v[14:15], v[34:35]
	v_mul_f64 v[2:3], v[12:13], v[34:35]
	v_add_f64 v[30:31], v[70:71], v[8:9]
	v_add_f64 v[34:35], v[77:78], v[10:11]
	s_waitcnt vmcnt(2) lgkmcnt(2)
	v_mul_f64 v[70:71], v[18:19], v[38:39]
	v_mul_f64 v[38:39], v[16:17], v[38:39]
	s_waitcnt vmcnt(1) lgkmcnt(0)
	v_mul_f64 v[77:78], v[24:25], v[42:43]
	v_mul_f64 v[42:43], v[26:27], v[42:43]
	v_fma_f64 v[12:13], v[12:13], v[32:33], -v[0:1]
	v_fma_f64 v[14:15], v[14:15], v[32:33], v[2:3]
	v_add_f64 v[0:1], v[30:31], v[62:63]
	v_add_f64 v[2:3], v[34:35], v[28:29]
	v_fma_f64 v[16:17], v[16:17], v[36:37], -v[70:71]
	v_fma_f64 v[18:19], v[18:19], v[36:37], v[38:39]
	s_waitcnt vmcnt(0)
	v_mul_f64 v[30:31], v[22:23], v[54:55]
	v_mul_f64 v[32:33], v[20:21], v[54:55]
	v_fma_f64 v[26:27], v[26:27], v[40:41], v[77:78]
	v_fma_f64 v[24:25], v[24:25], v[40:41], -v[42:43]
	v_add_f64 v[0:1], v[0:1], v[12:13]
	v_add_f64 v[2:3], v[2:3], v[14:15]
	v_fma_f64 v[20:21], v[20:21], v[52:53], -v[30:31]
	v_fma_f64 v[22:23], v[22:23], v[52:53], v[32:33]
	v_add_f64 v[34:35], v[64:65], -v[26:27]
	v_add_f64 v[36:37], v[60:61], -v[24:25]
	v_add_f64 v[0:1], v[0:1], v[16:17]
	v_add_f64 v[2:3], v[2:3], v[18:19]
	;; [unrolled: 1-line block ×4, first 2 shown]
	v_add_f64 v[110:111], v[48:49], -v[20:21]
	v_add_f64 v[108:109], v[50:51], -v[22:23]
	v_mul_f64 v[38:39], v[34:35], s[38:39]
	v_mul_f64 v[40:41], v[36:37], s[38:39]
	v_add_f64 v[0:1], v[0:1], v[20:21]
	v_add_f64 v[2:3], v[2:3], v[22:23]
	v_mul_f64 v[54:55], v[34:35], s[34:35]
	v_mul_f64 v[60:61], v[36:37], s[34:35]
	v_mul_f64 v[83:84], v[34:35], s[22:23]
	v_mul_f64 v[85:86], v[36:37], s[22:23]
	v_mul_f64 v[87:88], v[34:35], s[26:27]
	v_mul_f64 v[89:90], v[36:37], s[26:27]
	v_add_f64 v[0:1], v[0:1], v[24:25]
	v_add_f64 v[2:3], v[2:3], v[26:27]
	v_mul_f64 v[24:25], v[34:35], s[30:31]
	v_mul_f64 v[26:27], v[36:37], s[30:31]
	;; [unrolled: 1-line block ×4, first 2 shown]
	v_fma_f64 v[42:43], v[30:31], s[14:15], -v[38:39]
	v_fma_f64 v[52:53], v[32:33], s[14:15], v[40:41]
	v_fma_f64 v[38:39], v[30:31], s[14:15], v[38:39]
	v_fma_f64 v[40:41], v[32:33], s[14:15], -v[40:41]
	v_fma_f64 v[64:65], v[30:31], s[8:9], -v[24:25]
	v_fma_f64 v[70:71], v[32:33], s[8:9], v[26:27]
	v_fma_f64 v[24:25], v[30:31], s[8:9], v[24:25]
	v_fma_f64 v[26:27], v[32:33], s[8:9], -v[26:27]
	;; [unrolled: 4-line block ×5, first 2 shown]
	v_add_f64 v[20:21], v[48:49], v[20:21]
	v_add_f64 v[22:23], v[50:51], v[22:23]
	v_mul_f64 v[48:49], v[108:109], s[30:31]
	v_mul_f64 v[50:51], v[110:111], s[30:31]
	v_fma_f64 v[112:113], v[30:31], s[36:37], -v[34:35]
	v_fma_f64 v[114:115], v[32:33], s[36:37], v[36:37]
	v_fma_f64 v[30:31], v[30:31], s[36:37], v[34:35]
	v_fma_f64 v[32:33], v[32:33], s[36:37], -v[36:37]
	v_add_f64 v[42:43], v[44:45], v[42:43]
	v_add_f64 v[52:53], v[46:47], v[52:53]
	;; [unrolled: 1-line block ×20, first 2 shown]
	v_fma_f64 v[87:88], v[20:21], s[8:9], -v[48:49]
	v_fma_f64 v[89:90], v[22:23], s[8:9], v[50:51]
	v_add_f64 v[112:113], v[44:45], v[112:113]
	v_add_f64 v[114:115], v[46:47], v[114:115]
	;; [unrolled: 1-line block ×4, first 2 shown]
	v_mul_f64 v[44:45], v[108:109], s[22:23]
	v_mul_f64 v[46:47], v[110:111], s[22:23]
	v_add_f64 v[42:43], v[87:88], v[42:43]
	v_add_f64 v[52:53], v[89:90], v[52:53]
	v_fma_f64 v[48:49], v[20:21], s[8:9], v[48:49]
	v_fma_f64 v[50:51], v[22:23], s[8:9], -v[50:51]
	v_mul_f64 v[87:88], v[108:109], s[28:29]
	v_mul_f64 v[89:90], v[110:111], s[28:29]
	v_fma_f64 v[116:117], v[20:21], s[10:11], -v[44:45]
	v_fma_f64 v[118:119], v[22:23], s[10:11], v[46:47]
	v_fma_f64 v[44:45], v[20:21], s[10:11], v[44:45]
	v_fma_f64 v[46:47], v[22:23], s[10:11], -v[46:47]
	v_add_f64 v[38:39], v[48:49], v[38:39]
	v_add_f64 v[40:41], v[50:51], v[40:41]
	v_fma_f64 v[48:49], v[20:21], s[36:37], -v[87:88]
	v_fma_f64 v[50:51], v[22:23], s[36:37], v[89:90]
	v_add_f64 v[64:65], v[116:117], v[64:65]
	v_add_f64 v[70:71], v[118:119], v[70:71]
	;; [unrolled: 1-line block ×4, first 2 shown]
	v_mul_f64 v[44:45], v[108:109], s[42:43]
	v_mul_f64 v[46:47], v[110:111], s[42:43]
	v_add_f64 v[48:49], v[48:49], v[77:78]
	v_add_f64 v[50:51], v[50:51], v[81:82]
	v_mul_f64 v[77:78], v[108:109], s[12:13]
	v_mul_f64 v[81:82], v[110:111], s[12:13]
	v_fma_f64 v[87:88], v[20:21], s[36:37], v[87:88]
	v_fma_f64 v[89:90], v[22:23], s[36:37], -v[89:90]
	v_fma_f64 v[116:117], v[20:21], s[24:25], -v[44:45]
	v_fma_f64 v[118:119], v[22:23], s[24:25], v[46:47]
	v_fma_f64 v[44:45], v[20:21], s[24:25], v[44:45]
	v_fma_f64 v[46:47], v[22:23], s[24:25], -v[46:47]
	v_fma_f64 v[120:121], v[20:21], s[6:7], -v[77:78]
	v_fma_f64 v[122:123], v[22:23], s[6:7], v[81:82]
	v_add_f64 v[54:55], v[87:88], v[54:55]
	v_add_f64 v[60:61], v[89:90], v[60:61]
	;; [unrolled: 1-line block ×4, first 2 shown]
	v_add_f64 v[100:101], v[58:59], -v[18:19]
	v_add_f64 v[102:103], v[56:57], -v[16:17]
	v_add_f64 v[44:45], v[44:45], v[83:84]
	v_add_f64 v[46:47], v[46:47], v[85:86]
	;; [unrolled: 1-line block ×4, first 2 shown]
	v_mul_f64 v[104:105], v[108:109], s[40:41]
	v_mul_f64 v[106:107], v[110:111], s[40:41]
	v_fma_f64 v[77:78], v[20:21], s[6:7], v[77:78]
	v_fma_f64 v[81:82], v[22:23], s[6:7], -v[81:82]
	v_add_f64 v[16:17], v[56:57], v[16:17]
	v_add_f64 v[18:19], v[58:59], v[18:19]
	v_mul_f64 v[56:57], v[100:101], s[34:35]
	v_mul_f64 v[58:59], v[102:103], s[34:35]
	v_fma_f64 v[108:109], v[20:21], s[14:15], -v[104:105]
	v_fma_f64 v[110:111], v[22:23], s[14:15], v[106:107]
	v_fma_f64 v[20:21], v[20:21], s[14:15], v[104:105]
	v_fma_f64 v[22:23], v[22:23], s[14:15], -v[106:107]
	v_add_f64 v[34:35], v[77:78], v[34:35]
	v_add_f64 v[36:37], v[81:82], v[36:37]
	v_fma_f64 v[77:78], v[16:17], s[6:7], -v[56:57]
	v_fma_f64 v[81:82], v[18:19], s[6:7], v[58:59]
	v_fma_f64 v[56:57], v[16:17], s[6:7], v[56:57]
	v_fma_f64 v[58:59], v[18:19], s[6:7], -v[58:59]
	v_add_f64 v[20:21], v[20:21], v[30:31]
	v_add_f64 v[22:23], v[22:23], v[32:33]
	v_mul_f64 v[30:31], v[100:101], s[28:29]
	v_mul_f64 v[32:33], v[102:103], s[28:29]
	v_add_f64 v[42:43], v[77:78], v[42:43]
	v_add_f64 v[52:53], v[81:82], v[52:53]
	v_mul_f64 v[77:78], v[100:101], s[46:47]
	v_mul_f64 v[81:82], v[102:103], s[46:47]
	v_add_f64 v[104:105], v[108:109], v[112:113]
	v_add_f64 v[106:107], v[110:111], v[114:115]
	v_fma_f64 v[108:109], v[16:17], s[36:37], -v[30:31]
	v_fma_f64 v[110:111], v[18:19], s[36:37], v[32:33]
	v_fma_f64 v[30:31], v[16:17], s[36:37], v[30:31]
	v_fma_f64 v[32:33], v[18:19], s[36:37], -v[32:33]
	v_add_f64 v[38:39], v[56:57], v[38:39]
	v_add_f64 v[40:41], v[58:59], v[40:41]
	v_fma_f64 v[56:57], v[16:17], s[10:11], -v[77:78]
	v_fma_f64 v[58:59], v[18:19], s[10:11], v[81:82]
	v_add_f64 v[64:65], v[108:109], v[64:65]
	v_add_f64 v[70:71], v[110:111], v[70:71]
	;; [unrolled: 1-line block ×4, first 2 shown]
	v_mul_f64 v[30:31], v[100:101], s[40:41]
	v_mul_f64 v[32:33], v[102:103], s[40:41]
	v_add_f64 v[48:49], v[56:57], v[48:49]
	v_add_f64 v[50:51], v[58:59], v[50:51]
	v_mul_f64 v[56:57], v[100:101], s[30:31]
	v_mul_f64 v[58:59], v[102:103], s[30:31]
	v_fma_f64 v[81:82], v[18:19], s[10:11], -v[81:82]
	v_fma_f64 v[77:78], v[16:17], s[10:11], v[77:78]
	v_fma_f64 v[108:109], v[16:17], s[14:15], -v[30:31]
	v_fma_f64 v[110:111], v[18:19], s[14:15], v[32:33]
	v_fma_f64 v[30:31], v[16:17], s[14:15], v[30:31]
	v_fma_f64 v[32:33], v[18:19], s[14:15], -v[32:33]
	v_fma_f64 v[112:113], v[16:17], s[8:9], -v[56:57]
	v_fma_f64 v[114:115], v[18:19], s[8:9], v[58:59]
	v_add_f64 v[60:61], v[81:82], v[60:61]
	v_fma_f64 v[56:57], v[16:17], s[8:9], v[56:57]
	v_fma_f64 v[58:59], v[18:19], s[8:9], -v[58:59]
	v_add_f64 v[81:82], v[110:111], v[89:90]
	v_add_f64 v[30:31], v[30:31], v[44:45]
	;; [unrolled: 1-line block ×5, first 2 shown]
	v_add_f64 v[83:84], v[68:69], -v[14:15]
	v_add_f64 v[85:86], v[66:67], -v[12:13]
	v_mul_f64 v[89:90], v[102:103], s[26:27]
	v_add_f64 v[12:13], v[66:67], v[12:13]
	v_add_f64 v[14:15], v[68:69], v[14:15]
	;; [unrolled: 1-line block ×4, first 2 shown]
	v_mul_f64 v[87:88], v[100:101], s[26:27]
	v_mul_f64 v[66:67], v[83:84], s[22:23]
	;; [unrolled: 1-line block ×3, first 2 shown]
	v_fma_f64 v[102:103], v[18:19], s[24:25], v[89:90]
	v_fma_f64 v[18:19], v[18:19], s[24:25], -v[89:90]
	v_add_f64 v[34:35], v[56:57], v[34:35]
	v_add_f64 v[36:37], v[58:59], v[36:37]
	v_fma_f64 v[100:101], v[16:17], s[24:25], -v[87:88]
	v_fma_f64 v[56:57], v[12:13], s[10:11], -v[66:67]
	v_fma_f64 v[58:59], v[14:15], s[10:11], v[68:69]
	v_fma_f64 v[16:17], v[16:17], s[24:25], v[87:88]
	v_add_f64 v[18:19], v[18:19], v[22:23]
	v_mul_f64 v[22:23], v[85:86], s[42:43]
	v_add_f64 v[89:90], v[102:103], v[106:107]
	v_add_f64 v[87:88], v[100:101], v[104:105]
	;; [unrolled: 1-line block ×4, first 2 shown]
	v_fma_f64 v[56:57], v[12:13], s[10:11], v[66:67]
	v_fma_f64 v[58:59], v[14:15], s[10:11], -v[68:69]
	v_mul_f64 v[66:67], v[83:84], s[40:41]
	v_mul_f64 v[68:69], v[85:86], s[40:41]
	v_add_f64 v[16:17], v[16:17], v[20:21]
	v_mul_f64 v[20:21], v[83:84], s[42:43]
	v_fma_f64 v[102:103], v[14:15], s[24:25], v[22:23]
	v_fma_f64 v[22:23], v[14:15], s[24:25], -v[22:23]
	v_add_f64 v[38:39], v[56:57], v[38:39]
	v_add_f64 v[40:41], v[58:59], v[40:41]
	v_fma_f64 v[56:57], v[12:13], s[14:15], -v[66:67]
	v_fma_f64 v[58:59], v[14:15], s[14:15], v[68:69]
	v_fma_f64 v[68:69], v[14:15], s[14:15], -v[68:69]
	v_fma_f64 v[100:101], v[12:13], s[24:25], -v[20:21]
	v_fma_f64 v[20:21], v[12:13], s[24:25], v[20:21]
	v_add_f64 v[22:23], v[22:23], v[26:27]
	v_mul_f64 v[26:27], v[85:86], s[34:35]
	v_add_f64 v[70:71], v[102:103], v[70:71]
	v_add_f64 v[48:49], v[56:57], v[48:49]
	;; [unrolled: 1-line block ×3, first 2 shown]
	v_fma_f64 v[56:57], v[12:13], s[14:15], v[66:67]
	v_mul_f64 v[58:59], v[83:84], s[48:49]
	v_add_f64 v[20:21], v[20:21], v[24:25]
	v_mul_f64 v[24:25], v[83:84], s[34:35]
	v_mul_f64 v[66:67], v[85:86], s[48:49]
	v_fma_f64 v[102:103], v[14:15], s[6:7], v[26:27]
	v_fma_f64 v[26:27], v[14:15], s[6:7], -v[26:27]
	v_add_f64 v[64:65], v[100:101], v[64:65]
	v_add_f64 v[54:55], v[56:57], v[54:55]
	v_fma_f64 v[56:57], v[12:13], s[36:37], -v[58:59]
	v_add_f64 v[60:61], v[68:69], v[60:61]
	v_fma_f64 v[100:101], v[12:13], s[6:7], -v[24:25]
	v_fma_f64 v[24:25], v[12:13], s[6:7], v[24:25]
	v_fma_f64 v[104:105], v[14:15], s[36:37], v[66:67]
	v_add_f64 v[26:27], v[26:27], v[32:33]
	v_fma_f64 v[58:59], v[12:13], s[36:37], v[58:59]
	v_fma_f64 v[66:67], v[14:15], s[36:37], -v[66:67]
	v_add_f64 v[32:33], v[56:57], v[44:45]
	v_add_f64 v[56:57], v[72:73], -v[62:63]
	v_add_f64 v[68:69], v[100:101], v[77:78]
	v_add_f64 v[24:25], v[24:25], v[30:31]
	v_mul_f64 v[30:31], v[83:84], s[44:45]
	v_add_f64 v[44:45], v[104:105], v[46:47]
	v_add_f64 v[46:47], v[74:75], -v[28:29]
	v_add_f64 v[77:78], v[102:103], v[81:82]
	v_mul_f64 v[81:82], v[85:86], s[44:45]
	v_add_f64 v[62:63], v[72:73], v[62:63]
	v_add_f64 v[72:73], v[74:75], v[28:29]
	v_mul_f64 v[74:75], v[56:57], s[26:27]
	v_fma_f64 v[83:84], v[12:13], s[8:9], -v[30:31]
	v_fma_f64 v[12:13], v[12:13], s[8:9], v[30:31]
	v_mul_f64 v[28:29], v[46:47], s[26:27]
	v_add_f64 v[30:31], v[58:59], v[34:35]
	v_fma_f64 v[85:86], v[14:15], s[8:9], v[81:82]
	v_fma_f64 v[14:15], v[14:15], s[8:9], -v[81:82]
	v_add_f64 v[58:59], v[66:67], v[36:37]
	v_fma_f64 v[36:37], v[72:73], s[24:25], v[74:75]
	v_add_f64 v[66:67], v[83:84], v[87:88]
	v_add_f64 v[16:17], v[12:13], v[16:17]
	v_fma_f64 v[34:35], v[62:63], s[24:25], -v[28:29]
	v_mul_f64 v[12:13], v[46:47], s[12:13]
	v_fma_f64 v[28:29], v[62:63], s[24:25], v[28:29]
	v_add_f64 v[18:19], v[14:15], v[18:19]
	v_mul_f64 v[14:15], v[56:57], s[12:13]
	v_add_f64 v[52:53], v[36:37], v[52:53]
	v_mul_f64 v[36:37], v[46:47], s[30:31]
	v_add_f64 v[81:82], v[85:86], v[89:90]
	v_add_f64 v[83:84], v[34:35], v[42:43]
	v_fma_f64 v[34:35], v[72:73], s[24:25], -v[74:75]
	v_mul_f64 v[42:43], v[56:57], s[30:31]
	v_fma_f64 v[74:75], v[62:63], s[6:7], -v[12:13]
	v_fma_f64 v[12:13], v[62:63], s[6:7], v[12:13]
	v_fma_f64 v[85:86], v[72:73], s[6:7], v[14:15]
	v_add_f64 v[87:88], v[28:29], v[38:39]
	v_fma_f64 v[14:15], v[72:73], s[6:7], -v[14:15]
	v_fma_f64 v[28:29], v[62:63], s[8:9], -v[36:37]
	v_add_f64 v[89:90], v[34:35], v[40:41]
	v_fma_f64 v[34:35], v[72:73], s[8:9], v[42:43]
	v_mul_f64 v[38:39], v[46:47], s[48:49]
	v_add_f64 v[20:21], v[12:13], v[20:21]
	v_mul_f64 v[12:13], v[56:57], s[48:49]
	v_add_f64 v[74:75], v[74:75], v[64:65]
	v_add_f64 v[22:23], v[14:15], v[22:23]
	;; [unrolled: 1-line block ×3, first 2 shown]
	v_fma_f64 v[14:15], v[62:63], s[8:9], v[36:37]
	v_fma_f64 v[28:29], v[72:73], s[8:9], -v[42:43]
	v_mul_f64 v[40:41], v[46:47], s[40:41]
	v_mul_f64 v[64:65], v[56:57], s[40:41]
	v_add_f64 v[50:51], v[34:35], v[50:51]
	v_fma_f64 v[34:35], v[62:63], s[36:37], -v[38:39]
	v_fma_f64 v[36:37], v[72:73], s[36:37], v[12:13]
	v_fma_f64 v[38:39], v[62:63], s[36:37], v[38:39]
	v_add_f64 v[70:71], v[85:86], v[70:71]
	v_fma_f64 v[12:13], v[72:73], s[36:37], -v[12:13]
	v_add_f64 v[85:86], v[14:15], v[54:55]
	v_add_f64 v[60:61], v[28:29], v[60:61]
	v_fma_f64 v[14:15], v[62:63], s[14:15], -v[40:41]
	v_fma_f64 v[28:29], v[72:73], s[14:15], v[64:65]
	v_add_f64 v[42:43], v[4:5], -v[8:9]
	v_add_f64 v[77:78], v[36:37], v[77:78]
	v_add_f64 v[36:37], v[38:39], v[24:25]
	v_mul_f64 v[24:25], v[46:47], s[22:23]
	v_mul_f64 v[54:55], v[56:57], s[22:23]
	v_add_f64 v[46:47], v[6:7], -v[10:11]
	v_add_f64 v[100:101], v[34:35], v[68:69]
	v_add_f64 v[34:35], v[12:13], v[26:27]
	v_fma_f64 v[12:13], v[62:63], s[14:15], v[40:41]
	v_add_f64 v[38:39], v[14:15], v[32:33]
	v_add_f64 v[40:41], v[28:29], v[44:45]
	v_fma_f64 v[14:15], v[72:73], s[14:15], -v[64:65]
	v_add_f64 v[28:29], v[6:7], v[10:11]
	v_mul_f64 v[6:7], v[42:43], s[28:29]
	v_fma_f64 v[56:57], v[72:73], s[10:11], v[54:55]
	v_add_f64 v[26:27], v[4:5], v[8:9]
	v_mul_f64 v[4:5], v[46:47], s[28:29]
	v_add_f64 v[44:45], v[12:13], v[30:31]
	v_fma_f64 v[8:9], v[62:63], s[10:11], v[24:25]
	v_add_f64 v[30:31], v[14:15], v[58:59]
	v_fma_f64 v[10:11], v[72:73], s[10:11], -v[54:55]
	v_mul_f64 v[54:55], v[46:47], s[40:41]
	v_fma_f64 v[58:59], v[28:29], s[36:37], v[6:7]
	v_fma_f64 v[32:33], v[62:63], s[10:11], -v[24:25]
	v_add_f64 v[12:13], v[56:57], v[81:82]
	v_fma_f64 v[56:57], v[26:27], s[36:37], -v[4:5]
	v_mul_f64 v[62:63], v[42:43], s[40:41]
	v_fma_f64 v[64:65], v[26:27], s[36:37], v[4:5]
	v_fma_f64 v[68:69], v[28:29], s[36:37], -v[6:7]
	v_add_f64 v[14:15], v[8:9], v[16:17]
	v_add_f64 v[24:25], v[10:11], v[18:19]
	;; [unrolled: 1-line block ×3, first 2 shown]
	v_mul_f64 v[16:17], v[46:47], s[26:27]
	v_mul_f64 v[18:19], v[42:43], s[26:27]
	v_fma_f64 v[52:53], v[26:27], s[14:15], v[54:55]
	v_mul_f64 v[58:59], v[46:47], s[44:45]
	v_fma_f64 v[8:9], v[26:27], s[14:15], -v[54:55]
	v_add_f64 v[4:5], v[56:57], v[83:84]
	v_fma_f64 v[10:11], v[28:29], s[14:15], v[62:63]
	v_fma_f64 v[56:57], v[28:29], s[14:15], -v[62:63]
	v_mul_f64 v[54:55], v[42:43], s[44:45]
	v_add_f64 v[32:33], v[32:33], v[66:67]
	v_add_f64 v[66:67], v[64:65], v[87:88]
	v_add_f64 v[64:65], v[68:69], v[89:90]
	v_fma_f64 v[62:63], v[26:27], s[24:25], -v[16:17]
	v_fma_f64 v[72:73], v[28:29], s[24:25], v[18:19]
	v_fma_f64 v[16:17], v[26:27], s[24:25], v[16:17]
	v_add_f64 v[68:69], v[52:53], v[20:21]
	v_fma_f64 v[52:53], v[26:27], s[8:9], -v[58:59]
	v_add_f64 v[10:11], v[10:11], v[70:71]
	v_add_f64 v[70:71], v[56:57], v[22:23]
	v_fma_f64 v[18:19], v[28:29], s[24:25], -v[18:19]
	v_fma_f64 v[56:57], v[28:29], s[8:9], v[54:55]
	v_add_f64 v[20:21], v[62:63], v[48:49]
	v_add_f64 v[22:23], v[72:73], v[50:51]
	;; [unrolled: 1-line block ×4, first 2 shown]
	v_fma_f64 v[52:53], v[26:27], s[8:9], v[58:59]
	v_fma_f64 v[62:63], v[28:29], s[8:9], -v[54:55]
	v_lshrrev_b32_e32 v55, 2, v91
	v_and_b32_e32 v54, 63, v91
	v_and_b32_e32 v55, 0x3f0, v55
	s_add_i32 s8, 0, 0x7ec0
	v_lshl_add_u32 v54, v54, 4, 0
	v_add_u32_e32 v58, s8, v55
	v_add_f64 v[8:9], v[8:9], v[74:75]
	v_add_f64 v[74:75], v[18:19], v[60:61]
	;; [unrolled: 1-line block ×3, first 2 shown]
	ds_read_b128 v[54:57], v54 offset:32448
	ds_read_b128 v[58:61], v58 offset:1024
	v_mul_f64 v[50:51], v[46:47], s[22:23]
	v_mul_f64 v[48:49], v[42:43], s[22:23]
	v_add_f64 v[76:77], v[52:53], v[36:37]
	v_mul_f64 v[85:86], v[46:47], s[12:13]
	s_waitcnt lgkmcnt(0)
	v_mul_f64 v[52:53], v[54:55], v[60:61]
	v_mul_f64 v[46:47], v[56:57], v[60:61]
	v_add_f64 v[78:79], v[62:63], v[34:35]
	v_mul_f64 v[42:43], v[42:43], s[12:13]
	v_fma_f64 v[81:82], v[26:27], s[10:11], -v[50:51]
	v_fma_f64 v[83:84], v[28:29], s[10:11], v[48:49]
	v_fma_f64 v[50:51], v[26:27], s[10:11], v[50:51]
	v_fma_f64 v[61:62], v[26:27], s[6:7], -v[85:86]
	v_fma_f64 v[89:90], v[56:57], v[58:59], v[52:53]
	v_mul_lo_u32 v52, v80, 13
	v_fma_f64 v[87:88], v[54:55], v[58:59], -v[46:47]
	v_add_f64 v[34:35], v[81:82], v[38:39]
	v_add_u32_e32 v63, v91, v52
	v_add_f64 v[36:37], v[83:84], v[40:41]
	v_add_f64 v[40:41], v[50:51], v[44:45]
	v_lshrrev_b32_e32 v44, 8, v91
	v_lshrrev_b32_e32 v53, 2, v63
	v_and_b32_e32 v44, 0x3f0, v44
	v_and_b32_e32 v45, 63, v63
	;; [unrolled: 1-line block ×3, first 2 shown]
	v_fma_f64 v[38:39], v[28:29], s[10:11], -v[48:49]
	v_add_u32_e32 v44, s8, v44
	v_lshl_add_u32 v48, v45, 4, 0
	v_add_u32_e32 v53, s8, v53
	ds_read_b128 v[44:47], v44 offset:2048
	ds_read_b128 v[48:51], v48 offset:32448
	ds_read_b128 v[53:56], v53 offset:1024
	v_lshrrev_b32_e32 v57, 8, v63
	v_and_b32_e32 v57, 0x3f0, v57
	v_add_u32_e32 v57, s8, v57
	ds_read_b128 v[57:60], v57 offset:2048
	s_waitcnt lgkmcnt(1)
	v_mul_f64 v[80:81], v[50:51], v[55:56]
	v_add_f64 v[30:31], v[38:39], v[30:31]
	v_add_f64 v[32:33], v[61:62], v[32:33]
	v_fma_f64 v[38:39], v[28:29], s[6:7], v[42:43]
	v_fma_f64 v[61:62], v[26:27], s[6:7], v[85:86]
	v_fma_f64 v[42:43], v[28:29], s[6:7], -v[42:43]
	v_mul_f64 v[26:27], v[87:88], v[46:47]
	v_mul_f64 v[28:29], v[48:49], v[55:56]
	v_fma_f64 v[100:101], v[48:49], v[53:54], -v[80:81]
	v_add_u32_e32 v63, v63, v52
	v_mul_f64 v[84:85], v[89:90], v[46:47]
	v_and_b32_e32 v46, 63, v63
	v_lshrrev_b32_e32 v47, 2, v63
	v_lshl_add_u32 v46, v46, 4, 0
	v_and_b32_e32 v47, 0x3f0, v47
	v_add_u32_e32 v55, s8, v47
	ds_read_b128 v[46:49], v46 offset:32448
	ds_read_b128 v[80:83], v55 offset:1024
	v_fma_f64 v[55:56], v[44:45], v[89:90], v[26:27]
	v_add_f64 v[26:27], v[38:39], v[12:13]
	v_fma_f64 v[12:13], v[50:51], v[53:54], v[28:29]
	s_waitcnt lgkmcnt(2)
	v_mul_f64 v[38:39], v[100:101], v[59:60]
	s_waitcnt lgkmcnt(0)
	v_mul_f64 v[50:51], v[48:49], v[82:83]
	v_add_f64 v[42:43], v[42:43], v[24:25]
	v_fma_f64 v[24:25], v[44:45], v[87:88], -v[84:85]
	v_add_f64 v[28:29], v[61:62], v[14:15]
	v_mul_f64 v[84:85], v[2:3], v[55:56]
	v_mul_f64 v[86:87], v[0:1], v[55:56]
	;; [unrolled: 1-line block ×3, first 2 shown]
	v_fma_f64 v[38:39], v[57:58], v[12:13], v[38:39]
	v_lshrrev_b32_e32 v12, 8, v63
	v_add_u32_e32 v63, v63, v52
	v_lshrrev_b32_e32 v53, 2, v63
	v_and_b32_e32 v12, 0x3f0, v12
	v_and_b32_e32 v13, 63, v63
	;; [unrolled: 1-line block ×3, first 2 shown]
	v_add_u32_e32 v12, s8, v12
	v_lshl_add_u32 v44, v13, 4, 0
	v_add_u32_e32 v53, s8, v53
	v_fma_f64 v[90:91], v[46:47], v[80:81], -v[50:51]
	v_mul_f64 v[50:51], v[46:47], v[82:83]
	ds_read_b128 v[12:15], v12 offset:2048
	ds_read_b128 v[44:47], v44 offset:32448
	;; [unrolled: 1-line block ×3, first 2 shown]
	v_lshrrev_b32_e32 v59, 8, v63
	v_and_b32_e32 v59, 0x3f0, v59
	v_add_u32_e32 v59, s8, v59
	ds_read_b128 v[59:62], v59 offset:2048
	s_waitcnt lgkmcnt(1)
	v_mul_f64 v[82:83], v[46:47], v[55:56]
	v_fma_f64 v[0:1], v[0:1], v[24:25], -v[84:85]
	v_fma_f64 v[2:3], v[2:3], v[24:25], v[86:87]
	v_fma_f64 v[24:25], v[57:58], v[100:101], -v[88:89]
	v_add_u32_e32 v63, v63, v52
	v_fma_f64 v[80:81], v[48:49], v[80:81], v[50:51]
	v_lshrrev_b32_e32 v49, 2, v63
	v_and_b32_e32 v48, 63, v63
	v_fma_f64 v[88:89], v[44:45], v[53:54], -v[82:83]
	v_mul_f64 v[44:45], v[44:45], v[55:56]
	v_and_b32_e32 v49, 0x3f0, v49
	v_lshl_add_u32 v48, v48, 4, 0
	v_add_u32_e32 v55, s8, v49
	ds_read_b128 v[48:51], v48 offset:32448
	ds_read_b128 v[55:58], v55 offset:1024
	v_mul_f64 v[84:85], v[6:7], v[38:39]
	v_mul_f64 v[38:39], v[4:5], v[38:39]
	;; [unrolled: 1-line block ×3, first 2 shown]
	v_fma_f64 v[44:45], v[46:47], v[53:54], v[44:45]
	s_waitcnt lgkmcnt(2)
	v_mul_f64 v[46:47], v[88:89], v[61:62]
	s_waitcnt lgkmcnt(0)
	v_mul_f64 v[53:54], v[50:51], v[57:58]
	v_mul_f64 v[57:58], v[48:49], v[57:58]
	;; [unrolled: 1-line block ×3, first 2 shown]
	v_fma_f64 v[4:5], v[4:5], v[24:25], -v[84:85]
	v_fma_f64 v[6:7], v[6:7], v[24:25], v[38:39]
	v_fma_f64 v[86:87], v[12:13], v[80:81], v[86:87]
	v_mul_f64 v[24:25], v[44:45], v[61:62]
	v_fma_f64 v[38:39], v[59:60], v[44:45], v[46:47]
	v_lshrrev_b32_e32 v44, 8, v63
	v_add_u32_e32 v63, v63, v52
	v_fma_f64 v[61:62], v[48:49], v[55:56], -v[53:54]
	v_lshrrev_b32_e32 v53, 2, v63
	v_and_b32_e32 v44, 0x3f0, v44
	v_and_b32_e32 v45, 63, v63
	;; [unrolled: 1-line block ×3, first 2 shown]
	v_add_u32_e32 v44, s8, v44
	v_lshl_add_u32 v48, v45, 4, 0
	v_add_u32_e32 v53, s8, v53
	v_fma_f64 v[57:58], v[50:51], v[55:56], v[57:58]
	ds_read_b128 v[44:47], v44 offset:2048
	ds_read_b128 v[48:51], v48 offset:32448
	;; [unrolled: 1-line block ×3, first 2 shown]
	v_lshrrev_b32_e32 v80, 8, v63
	v_and_b32_e32 v80, 0x3f0, v80
	v_add_u32_e32 v80, s8, v80
	ds_read_b128 v[80:83], v80 offset:2048
	s_waitcnt lgkmcnt(1)
	v_mul_f64 v[84:85], v[50:51], v[55:56]
	v_fma_f64 v[14:15], v[12:13], v[90:91], -v[14:15]
	v_mul_f64 v[55:56], v[48:49], v[55:56]
	v_mul_f64 v[12:13], v[10:11], v[86:87]
	;; [unrolled: 1-line block ×3, first 2 shown]
	v_fma_f64 v[24:25], v[59:60], v[88:89], -v[24:25]
	v_mul_f64 v[59:60], v[22:23], v[38:39]
	v_mul_f64 v[38:39], v[20:21], v[38:39]
	v_fma_f64 v[90:91], v[48:49], v[53:54], -v[84:85]
	v_mul_f64 v[88:89], v[57:58], v[46:47]
	v_mul_f64 v[46:47], v[61:62], v[46:47]
	v_fma_f64 v[48:49], v[50:51], v[53:54], v[55:56]
	v_add_u32_e32 v53, v63, v52
	v_add_u32_e32 v63, v53, v52
	v_fma_f64 v[12:13], v[8:9], v[14:15], -v[12:13]
	v_fma_f64 v[14:15], v[10:11], v[14:15], v[86:87]
	s_waitcnt lgkmcnt(0)
	v_mul_f64 v[50:51], v[90:91], v[82:83]
	v_fma_f64 v[8:9], v[20:21], v[24:25], -v[59:60]
	v_fma_f64 v[10:11], v[22:23], v[24:25], v[38:39]
	v_fma_f64 v[24:25], v[44:45], v[61:62], -v[88:89]
	v_fma_f64 v[38:39], v[44:45], v[57:58], v[46:47]
	v_lshrrev_b32_e32 v21, 2, v53
	v_mul_f64 v[86:87], v[48:49], v[82:83]
	v_lshrrev_b32_e32 v57, 2, v63
	v_fma_f64 v[88:89], v[80:81], v[48:49], v[50:51]
	v_lshrrev_b32_e32 v48, 8, v53
	v_and_b32_e32 v20, 63, v53
	v_and_b32_e32 v21, 0x3f0, v21
	;; [unrolled: 1-line block ×5, first 2 shown]
	v_lshl_add_u32 v20, v20, 4, 0
	v_add_u32_e32 v44, s8, v21
	v_add_u32_e32 v48, s8, v48
	v_lshl_add_u32 v53, v49, 4, 0
	v_add_u32_e32 v57, s8, v57
	ds_read_b128 v[20:23], v20 offset:32448
	ds_read_b128 v[44:47], v44 offset:1024
	;; [unrolled: 1-line block ×5, first 2 shown]
	v_lshrrev_b32_e32 v82, 8, v63
	v_and_b32_e32 v82, 0x3f0, v82
	v_add_u32_e32 v82, s8, v82
	ds_read_b128 v[82:85], v82 offset:2048
	v_mul_f64 v[61:62], v[18:19], v[38:39]
	v_mul_f64 v[38:39], v[16:17], v[38:39]
	s_waitcnt lgkmcnt(4)
	v_mul_f64 v[100:101], v[22:23], v[46:47]
	s_waitcnt lgkmcnt(1)
	v_mul_f64 v[102:103], v[55:56], v[59:60]
	v_add_u32_e32 v63, v63, v52
	v_fma_f64 v[16:17], v[16:17], v[24:25], -v[61:62]
	v_fma_f64 v[18:19], v[18:19], v[24:25], v[38:39]
	v_fma_f64 v[24:25], v[80:81], v[90:91], -v[86:87]
	v_fma_f64 v[90:91], v[20:21], v[44:45], -v[100:101]
	v_mul_f64 v[20:21], v[20:21], v[46:47]
	v_fma_f64 v[100:101], v[53:54], v[57:58], -v[102:103]
	v_mul_f64 v[46:47], v[53:54], v[59:60]
	v_and_b32_e32 v53, 63, v63
	v_lshrrev_b32_e32 v54, 2, v63
	v_lshl_add_u32 v53, v53, 4, 0
	v_and_b32_e32 v54, 0x3f0, v54
	v_mul_f64 v[38:39], v[36:37], v[88:89]
	v_mul_f64 v[80:81], v[34:35], v[88:89]
	v_add_u32_e32 v54, s8, v54
	ds_read_b128 v[59:62], v53 offset:32448
	ds_read_b128 v[86:89], v54 offset:1024
	v_fma_f64 v[44:45], v[22:23], v[44:45], v[20:21]
	v_mul_f64 v[53:54], v[90:91], v[50:51]
	v_fma_f64 v[46:47], v[55:56], v[57:58], v[46:47]
	s_waitcnt lgkmcnt(2)
	v_mul_f64 v[55:56], v[100:101], v[84:85]
	s_waitcnt lgkmcnt(0)
	v_mul_f64 v[57:58], v[61:62], v[88:89]
	v_mul_f64 v[88:89], v[59:60], v[88:89]
	v_fma_f64 v[20:21], v[34:35], v[24:25], -v[38:39]
	v_lshrrev_b32_e32 v34, 8, v63
	v_and_b32_e32 v34, 0x3f0, v34
	v_fma_f64 v[38:39], v[48:49], v[44:45], v[53:54]
	v_add_u32_e32 v34, s8, v34
	v_fma_f64 v[53:54], v[82:83], v[46:47], v[55:56]
	v_fma_f64 v[55:56], v[59:60], v[86:87], -v[57:58]
	v_fma_f64 v[57:58], v[61:62], v[86:87], v[88:89]
	v_fma_f64 v[22:23], v[36:37], v[24:25], v[80:81]
	ds_read_b128 v[34:37], v34 offset:2048
	v_mul_f64 v[24:25], v[44:45], v[50:51]
	v_mul_f64 v[50:51], v[46:47], v[84:85]
	v_add_u32_e32 v63, v63, v52
	v_and_b32_e32 v44, 63, v63
	v_lshl_add_u32 v44, v44, 4, 0
	s_waitcnt lgkmcnt(0)
	v_mul_f64 v[59:60], v[57:58], v[36:37]
	v_mul_f64 v[36:37], v[55:56], v[36:37]
	ds_read_b128 v[44:47], v44 offset:32448
	v_fma_f64 v[61:62], v[48:49], v[90:91], -v[24:25]
	v_fma_f64 v[100:101], v[82:83], v[100:101], -v[50:51]
	v_mul_f64 v[24:25], v[26:27], v[38:39]
	v_mul_f64 v[80:81], v[32:33], v[38:39]
	;; [unrolled: 1-line block ×3, first 2 shown]
	v_fma_f64 v[104:105], v[34:35], v[55:56], -v[59:60]
	v_fma_f64 v[55:56], v[34:35], v[57:58], v[36:37]
	v_lshrrev_b32_e32 v34, 2, v63
	v_and_b32_e32 v34, 0x3f0, v34
	v_add_u32_e32 v34, s8, v34
	ds_read_b128 v[48:51], v34 offset:1024
	v_lshrrev_b32_e32 v34, 8, v63
	v_and_b32_e32 v34, 0x3f0, v34
	v_add_u32_e32 v34, s8, v34
	ds_read_b128 v[36:39], v34 offset:2048
	s_waitcnt lgkmcnt(1)
	v_mul_f64 v[34:35], v[46:47], v[50:51]
	v_add_u32_e32 v59, v63, v52
	v_and_b32_e32 v57, 63, v59
	v_lshrrev_b32_e32 v58, 2, v59
	v_lshl_add_u32 v57, v57, 4, 0
	v_and_b32_e32 v58, 0x3f0, v58
	v_add_u32_e32 v58, s8, v58
	ds_read_b128 v[84:87], v57 offset:32448
	ds_read_b128 v[88:91], v58 offset:1024
	v_mul_f64 v[53:54], v[28:29], v[53:54]
	v_mul_f64 v[57:58], v[30:31], v[55:56]
	;; [unrolled: 1-line block ×3, first 2 shown]
	v_fma_f64 v[82:83], v[44:45], v[48:49], -v[34:35]
	s_waitcnt lgkmcnt(0)
	v_mul_f64 v[44:45], v[86:87], v[90:91]
	v_fma_f64 v[24:25], v[32:33], v[61:62], -v[24:25]
	v_fma_f64 v[32:33], v[28:29], v[100:101], -v[102:103]
	v_fma_f64 v[26:27], v[26:27], v[61:62], v[80:81]
	v_fma_f64 v[34:35], v[42:43], v[100:101], v[53:54]
	v_add_u32_e32 v53, v59, v52
	v_fma_f64 v[28:29], v[40:41], v[104:105], -v[57:58]
	v_mul_f64 v[101:102], v[40:41], v[55:56]
	v_fma_f64 v[106:107], v[46:47], v[48:49], v[50:51]
	v_lshrrev_b32_e32 v40, 8, v59
	v_lshrrev_b32_e32 v48, 2, v53
	v_add_u32_e32 v100, v53, v52
	v_and_b32_e32 v40, 0x3f0, v40
	v_and_b32_e32 v41, 63, v53
	;; [unrolled: 1-line block ×3, first 2 shown]
	v_lshrrev_b32_e32 v54, 8, v53
	v_and_b32_e32 v52, 63, v100
	v_lshrrev_b32_e32 v53, 2, v100
	v_fma_f64 v[80:81], v[84:85], v[88:89], -v[44:45]
	v_add_u32_e32 v40, s8, v40
	v_lshl_add_u32 v44, v41, 4, 0
	v_add_u32_e32 v48, s8, v48
	v_lshl_add_u32 v52, v52, 4, 0
	v_and_b32_e32 v53, 0x3f0, v53
	ds_read_b128 v[40:43], v40 offset:2048
	ds_read_b128 v[44:47], v44 offset:32448
	;; [unrolled: 1-line block ×3, first 2 shown]
	v_add_u32_e32 v53, s8, v53
	ds_read_b128 v[56:59], v52 offset:32448
	ds_read_b128 v[60:63], v53 offset:1024
	v_mul_f64 v[108:109], v[82:83], v[38:39]
	v_mul_f64 v[110:111], v[84:85], v[90:91]
	s_waitcnt lgkmcnt(2)
	v_mul_f64 v[112:113], v[46:47], v[50:51]
	v_mul_f64 v[90:91], v[106:107], v[38:39]
	s_waitcnt lgkmcnt(0)
	v_mul_f64 v[114:115], v[58:59], v[62:63]
	v_mul_f64 v[50:51], v[44:45], v[50:51]
	v_and_b32_e32 v52, 0x3f0, v54
	v_add_u32_e32 v52, s8, v52
	ds_read_b128 v[52:55], v52 offset:2048
	v_fma_f64 v[30:31], v[30:31], v[104:105], v[101:102]
	v_fma_f64 v[44:45], v[44:45], v[48:49], -v[112:113]
	v_fma_f64 v[84:85], v[36:37], v[106:107], v[108:109]
	v_fma_f64 v[38:39], v[56:57], v[60:61], -v[114:115]
	v_mul_f64 v[56:57], v[56:57], v[62:63]
	v_lshrrev_b32_e32 v62, 8, v100
	v_and_b32_e32 v62, 0x3f0, v62
	v_add_u32_e32 v62, s8, v62
	ds_read_b128 v[100:103], v62 offset:2048
	v_fma_f64 v[86:87], v[86:87], v[88:89], v[110:111]
	v_mul_f64 v[88:89], v[80:81], v[42:43]
	v_fma_f64 v[46:47], v[46:47], v[48:49], v[50:51]
	s_waitcnt lgkmcnt(1)
	v_mul_f64 v[48:49], v[44:45], v[54:55]
	v_fma_f64 v[50:51], v[36:37], v[82:83], -v[90:91]
	v_fma_f64 v[36:37], v[58:59], v[60:61], v[56:57]
	s_waitcnt lgkmcnt(0)
	v_mul_f64 v[56:57], v[38:39], v[102:103]
	v_mul_f64 v[60:61], v[78:79], v[84:85]
	;; [unrolled: 1-line block ×3, first 2 shown]
	v_fma_f64 v[58:59], v[40:41], v[86:87], v[88:89]
	v_mul_f64 v[54:55], v[46:47], v[54:55]
	v_fma_f64 v[46:47], v[52:53], v[46:47], v[48:49]
	v_mul_f64 v[48:49], v[76:77], v[84:85]
	v_mul_f64 v[62:63], v[36:37], v[102:103]
	v_fma_f64 v[36:37], v[100:101], v[36:37], v[56:57]
	v_fma_f64 v[42:43], v[40:41], v[80:81], -v[42:43]
	v_mul_f64 v[40:41], v[74:75], v[58:59]
	v_mul_f64 v[56:57], v[72:73], v[58:59]
	v_fma_f64 v[52:53], v[52:53], v[44:45], -v[54:55]
	v_mul_f64 v[44:45], v[70:71], v[46:47]
	v_mul_f64 v[46:47], v[68:69], v[46:47]
	;; [unrolled: 3-line block ×3, first 2 shown]
	v_fma_f64 v[36:37], v[76:77], v[50:51], -v[60:61]
	v_fma_f64 v[38:39], v[78:79], v[50:51], v[48:49]
	v_fma_f64 v[40:41], v[72:73], v[42:43], -v[40:41]
	v_fma_f64 v[42:43], v[74:75], v[42:43], v[56:57]
	;; [unrolled: 2-line block ×4, first 2 shown]
	s_barrier
	ds_write_b128 v99, v[0:3]
	ds_write_b128 v99, v[4:7] offset:208
	ds_write_b128 v99, v[12:15] offset:416
	;; [unrolled: 1-line block ×12, first 2 shown]
	s_waitcnt lgkmcnt(0)
	s_barrier
	s_and_saveexec_b64 s[6:7], s[0:1]
	s_cbranch_execz .LBB0_19
; %bb.18:
	v_mad_u64_u32 v[0:1], s[0:1], s18, v97, 0
	v_mad_u64_u32 v[2:3], s[0:1], s16, v92, 0
	v_add_u32_e32 v18, 0x4e, v92
	v_mad_u64_u32 v[4:5], s[0:1], s19, v97, v[1:2]
	v_mov_b32_e32 v1, v3
	v_mad_u64_u32 v[5:6], s[0:1], s17, v92, v[1:2]
	s_movk_i32 s0, 0xa90
	v_mul_lo_u32 v6, v97, s0
	v_mov_b32_e32 v1, v4
	s_lshl_b64 s[0:1], s[4:5], 4
	s_add_u32 s0, s2, s0
	v_lshlrev_b64 v[0:1], 4, v[0:1]
	s_addc_u32 s1, s3, s1
	v_mov_b32_e32 v4, s1
	v_add_co_u32_e32 v16, vcc, s0, v0
	v_mad_u64_u32 v[8:9], s[0:1], s16, v96, 0
	v_mov_b32_e32 v3, v5
	v_addc_co_u32_e32 v17, vcc, v4, v1, vcc
	v_lshlrev_b64 v[0:1], 4, v[2:3]
	v_add3_u32 v15, 0, v6, v98
	v_add_co_u32_e32 v10, vcc, v16, v0
	v_mov_b32_e32 v4, v9
	v_addc_co_u32_e32 v11, vcc, v17, v1, vcc
	ds_read_b128 v[0:3], v15
	v_mad_u64_u32 v[12:13], s[0:1], s17, v96, v[4:5]
	ds_read_b128 v[4:7], v15 offset:208
	v_mad_u64_u32 v[13:14], s[0:1], s16, v95, 0
	s_waitcnt lgkmcnt(1)
	global_store_dwordx4 v[10:11], v[0:3], off
	v_mov_b32_e32 v9, v12
	v_mov_b32_e32 v2, v14
	v_mad_u64_u32 v[2:3], s[0:1], s17, v95, v[2:3]
	v_lshlrev_b64 v[0:1], 4, v[8:9]
	v_mad_u64_u32 v[8:9], s[0:1], s16, v94, 0
	v_add_co_u32_e32 v0, vcc, v16, v0
	v_addc_co_u32_e32 v1, vcc, v17, v1, vcc
	v_mov_b32_e32 v14, v2
	s_waitcnt lgkmcnt(0)
	global_store_dwordx4 v[0:1], v[4:7], off
	v_lshlrev_b64 v[0:1], 4, v[13:14]
	v_mov_b32_e32 v4, v9
	v_add_co_u32_e32 v10, vcc, v16, v0
	v_addc_co_u32_e32 v11, vcc, v17, v1, vcc
	ds_read_b128 v[0:3], v15 offset:416
	v_mad_u64_u32 v[12:13], s[0:1], s17, v94, v[4:5]
	ds_read_b128 v[4:7], v15 offset:624
	v_mad_u64_u32 v[13:14], s[0:1], s16, v93, 0
	s_waitcnt lgkmcnt(1)
	global_store_dwordx4 v[10:11], v[0:3], off
	v_mov_b32_e32 v9, v12
	v_mov_b32_e32 v2, v14
	v_mad_u64_u32 v[2:3], s[0:1], s17, v93, v[2:3]
	v_lshlrev_b64 v[0:1], 4, v[8:9]
	v_mov_b32_e32 v14, v2
	v_add_u32_e32 v2, 0x41, v92
	v_add_co_u32_e32 v0, vcc, v16, v0
	v_mad_u64_u32 v[8:9], s[0:1], s16, v2, 0
	v_addc_co_u32_e32 v1, vcc, v17, v1, vcc
	s_waitcnt lgkmcnt(0)
	global_store_dwordx4 v[0:1], v[4:7], off
	v_lshlrev_b64 v[0:1], 4, v[13:14]
	v_add_co_u32_e32 v10, vcc, v16, v0
	v_mov_b32_e32 v0, v9
	v_mad_u64_u32 v[12:13], s[0:1], s17, v2, v[0:1]
	v_addc_co_u32_e32 v11, vcc, v17, v1, vcc
	ds_read_b128 v[0:3], v15 offset:832
	ds_read_b128 v[4:7], v15 offset:1040
	v_mad_u64_u32 v[13:14], s[0:1], s16, v18, 0
	v_mov_b32_e32 v9, v12
	s_waitcnt lgkmcnt(1)
	global_store_dwordx4 v[10:11], v[0:3], off
	s_nop 0
	v_mov_b32_e32 v2, v14
	v_mad_u64_u32 v[2:3], s[0:1], s17, v18, v[2:3]
	v_lshlrev_b64 v[0:1], 4, v[8:9]
	v_add_u32_e32 v18, 0x68, v92
	v_mov_b32_e32 v14, v2
	v_add_u32_e32 v2, 0x5b, v92
	v_add_co_u32_e32 v0, vcc, v16, v0
	v_mad_u64_u32 v[8:9], s[0:1], s16, v2, 0
	v_addc_co_u32_e32 v1, vcc, v17, v1, vcc
	s_waitcnt lgkmcnt(0)
	global_store_dwordx4 v[0:1], v[4:7], off
	v_lshlrev_b64 v[0:1], 4, v[13:14]
	v_add_co_u32_e32 v10, vcc, v16, v0
	v_mov_b32_e32 v0, v9
	v_mad_u64_u32 v[12:13], s[0:1], s17, v2, v[0:1]
	v_addc_co_u32_e32 v11, vcc, v17, v1, vcc
	ds_read_b128 v[0:3], v15 offset:1248
	ds_read_b128 v[4:7], v15 offset:1456
	v_mad_u64_u32 v[13:14], s[0:1], s16, v18, 0
	v_mov_b32_e32 v9, v12
	s_waitcnt lgkmcnt(1)
	global_store_dwordx4 v[10:11], v[0:3], off
	s_nop 0
	v_mov_b32_e32 v2, v14
	v_mad_u64_u32 v[2:3], s[0:1], s17, v18, v[2:3]
	v_lshlrev_b64 v[0:1], 4, v[8:9]
	v_add_u32_e32 v18, 0x82, v92
	;; [unrolled: 23-line block ×3, first 2 shown]
	v_mov_b32_e32 v14, v2
	v_add_u32_e32 v2, 0x8f, v92
	v_add_co_u32_e32 v0, vcc, v16, v0
	v_mad_u64_u32 v[8:9], s[0:1], s16, v2, 0
	v_addc_co_u32_e32 v1, vcc, v17, v1, vcc
	s_waitcnt lgkmcnt(0)
	global_store_dwordx4 v[0:1], v[4:7], off
	v_lshlrev_b64 v[0:1], 4, v[13:14]
	v_add_co_u32_e32 v10, vcc, v16, v0
	v_mov_b32_e32 v0, v9
	v_mad_u64_u32 v[12:13], s[0:1], s17, v2, v[0:1]
	v_addc_co_u32_e32 v11, vcc, v17, v1, vcc
	ds_read_b128 v[0:3], v15 offset:2080
	ds_read_b128 v[4:7], v15 offset:2288
	v_mad_u64_u32 v[13:14], s[0:1], s16, v18, 0
	v_mov_b32_e32 v9, v12
	s_waitcnt lgkmcnt(1)
	global_store_dwordx4 v[10:11], v[0:3], off
	s_nop 0
	v_mov_b32_e32 v2, v14
	v_lshlrev_b64 v[0:1], 4, v[8:9]
	v_mad_u64_u32 v[2:3], s[0:1], s17, v18, v[2:3]
	v_add_co_u32_e32 v0, vcc, v16, v0
	v_addc_co_u32_e32 v1, vcc, v17, v1, vcc
	s_waitcnt lgkmcnt(0)
	global_store_dwordx4 v[0:1], v[4:7], off
	v_mov_b32_e32 v14, v2
	ds_read_b128 v[0:3], v15 offset:2496
	v_lshlrev_b64 v[4:5], 4, v[13:14]
	v_add_co_u32_e32 v4, vcc, v16, v4
	v_addc_co_u32_e32 v5, vcc, v17, v5, vcc
	s_waitcnt lgkmcnt(0)
	global_store_dwordx4 v[4:5], v[0:3], off
.LBB0_19:
	s_endpgm
	.section	.rodata,"a",@progbits
	.p2align	6, 0x0
	.amdhsa_kernel fft_rtc_fwd_len169_factors_13_13_wgs_156_tpt_13_dp_ip_CI_sbcc_twdbase6_3step
		.amdhsa_group_segment_fixed_size 0
		.amdhsa_private_segment_fixed_size 0
		.amdhsa_kernarg_size 96
		.amdhsa_user_sgpr_count 6
		.amdhsa_user_sgpr_private_segment_buffer 1
		.amdhsa_user_sgpr_dispatch_ptr 0
		.amdhsa_user_sgpr_queue_ptr 0
		.amdhsa_user_sgpr_kernarg_segment_ptr 1
		.amdhsa_user_sgpr_dispatch_id 0
		.amdhsa_user_sgpr_flat_scratch_init 0
		.amdhsa_user_sgpr_private_segment_size 0
		.amdhsa_uses_dynamic_stack 0
		.amdhsa_system_sgpr_private_segment_wavefront_offset 0
		.amdhsa_system_sgpr_workgroup_id_x 1
		.amdhsa_system_sgpr_workgroup_id_y 0
		.amdhsa_system_sgpr_workgroup_id_z 0
		.amdhsa_system_sgpr_workgroup_info 0
		.amdhsa_system_vgpr_workitem_id 0
		.amdhsa_next_free_vgpr 128
		.amdhsa_next_free_sgpr 50
		.amdhsa_reserve_vcc 1
		.amdhsa_reserve_flat_scratch 0
		.amdhsa_float_round_mode_32 0
		.amdhsa_float_round_mode_16_64 0
		.amdhsa_float_denorm_mode_32 3
		.amdhsa_float_denorm_mode_16_64 3
		.amdhsa_dx10_clamp 1
		.amdhsa_ieee_mode 1
		.amdhsa_fp16_overflow 0
		.amdhsa_exception_fp_ieee_invalid_op 0
		.amdhsa_exception_fp_denorm_src 0
		.amdhsa_exception_fp_ieee_div_zero 0
		.amdhsa_exception_fp_ieee_overflow 0
		.amdhsa_exception_fp_ieee_underflow 0
		.amdhsa_exception_fp_ieee_inexact 0
		.amdhsa_exception_int_div_zero 0
	.end_amdhsa_kernel
	.text
.Lfunc_end0:
	.size	fft_rtc_fwd_len169_factors_13_13_wgs_156_tpt_13_dp_ip_CI_sbcc_twdbase6_3step, .Lfunc_end0-fft_rtc_fwd_len169_factors_13_13_wgs_156_tpt_13_dp_ip_CI_sbcc_twdbase6_3step
                                        ; -- End function
	.section	.AMDGPU.csdata,"",@progbits
; Kernel info:
; codeLenInByte = 14080
; NumSgprs: 54
; NumVgprs: 128
; ScratchSize: 0
; MemoryBound: 0
; FloatMode: 240
; IeeeMode: 1
; LDSByteSize: 0 bytes/workgroup (compile time only)
; SGPRBlocks: 6
; VGPRBlocks: 31
; NumSGPRsForWavesPerEU: 54
; NumVGPRsForWavesPerEU: 128
; Occupancy: 2
; WaveLimiterHint : 1
; COMPUTE_PGM_RSRC2:SCRATCH_EN: 0
; COMPUTE_PGM_RSRC2:USER_SGPR: 6
; COMPUTE_PGM_RSRC2:TRAP_HANDLER: 0
; COMPUTE_PGM_RSRC2:TGID_X_EN: 1
; COMPUTE_PGM_RSRC2:TGID_Y_EN: 0
; COMPUTE_PGM_RSRC2:TGID_Z_EN: 0
; COMPUTE_PGM_RSRC2:TIDIG_COMP_CNT: 0
	.type	__hip_cuid_65c5e214bfebb2bf,@object ; @__hip_cuid_65c5e214bfebb2bf
	.section	.bss,"aw",@nobits
	.globl	__hip_cuid_65c5e214bfebb2bf
__hip_cuid_65c5e214bfebb2bf:
	.byte	0                               ; 0x0
	.size	__hip_cuid_65c5e214bfebb2bf, 1

	.ident	"AMD clang version 19.0.0git (https://github.com/RadeonOpenCompute/llvm-project roc-6.4.0 25133 c7fe45cf4b819c5991fe208aaa96edf142730f1d)"
	.section	".note.GNU-stack","",@progbits
	.addrsig
	.addrsig_sym __hip_cuid_65c5e214bfebb2bf
	.amdgpu_metadata
---
amdhsa.kernels:
  - .args:
      - .actual_access:  read_only
        .address_space:  global
        .offset:         0
        .size:           8
        .value_kind:     global_buffer
      - .address_space:  global
        .offset:         8
        .size:           8
        .value_kind:     global_buffer
      - .offset:         16
        .size:           8
        .value_kind:     by_value
      - .actual_access:  read_only
        .address_space:  global
        .offset:         24
        .size:           8
        .value_kind:     global_buffer
      - .actual_access:  read_only
        .address_space:  global
        .offset:         32
        .size:           8
        .value_kind:     global_buffer
      - .offset:         40
        .size:           8
        .value_kind:     by_value
      - .actual_access:  read_only
        .address_space:  global
        .offset:         48
        .size:           8
        .value_kind:     global_buffer
      - .actual_access:  read_only
        .address_space:  global
        .offset:         56
        .size:           8
        .value_kind:     global_buffer
      - .offset:         64
        .size:           4
        .value_kind:     by_value
      - .actual_access:  read_only
        .address_space:  global
        .offset:         72
        .size:           8
        .value_kind:     global_buffer
      - .actual_access:  read_only
        .address_space:  global
        .offset:         80
        .size:           8
        .value_kind:     global_buffer
      - .address_space:  global
        .offset:         88
        .size:           8
        .value_kind:     global_buffer
    .group_segment_fixed_size: 0
    .kernarg_segment_align: 8
    .kernarg_segment_size: 96
    .language:       OpenCL C
    .language_version:
      - 2
      - 0
    .max_flat_workgroup_size: 156
    .name:           fft_rtc_fwd_len169_factors_13_13_wgs_156_tpt_13_dp_ip_CI_sbcc_twdbase6_3step
    .private_segment_fixed_size: 0
    .sgpr_count:     54
    .sgpr_spill_count: 0
    .symbol:         fft_rtc_fwd_len169_factors_13_13_wgs_156_tpt_13_dp_ip_CI_sbcc_twdbase6_3step.kd
    .uniform_work_group_size: 1
    .uses_dynamic_stack: false
    .vgpr_count:     128
    .vgpr_spill_count: 0
    .wavefront_size: 64
amdhsa.target:   amdgcn-amd-amdhsa--gfx906
amdhsa.version:
  - 1
  - 2
...

	.end_amdgpu_metadata
